;; amdgpu-corpus repo=ROCm/rocFFT kind=compiled arch=gfx1201 opt=O3
	.text
	.amdgcn_target "amdgcn-amd-amdhsa--gfx1201"
	.amdhsa_code_object_version 6
	.protected	fft_rtc_back_len320_factors_10_4_4_2_wgs_64_tpt_16_halfLds_dp_ip_CI_unitstride_sbrr_R2C_dirReg ; -- Begin function fft_rtc_back_len320_factors_10_4_4_2_wgs_64_tpt_16_halfLds_dp_ip_CI_unitstride_sbrr_R2C_dirReg
	.globl	fft_rtc_back_len320_factors_10_4_4_2_wgs_64_tpt_16_halfLds_dp_ip_CI_unitstride_sbrr_R2C_dirReg
	.p2align	8
	.type	fft_rtc_back_len320_factors_10_4_4_2_wgs_64_tpt_16_halfLds_dp_ip_CI_unitstride_sbrr_R2C_dirReg,@function
fft_rtc_back_len320_factors_10_4_4_2_wgs_64_tpt_16_halfLds_dp_ip_CI_unitstride_sbrr_R2C_dirReg: ; @fft_rtc_back_len320_factors_10_4_4_2_wgs_64_tpt_16_halfLds_dp_ip_CI_unitstride_sbrr_R2C_dirReg
; %bb.0:
	s_clause 0x2
	s_load_b128 s[4:7], s[0:1], 0x0
	s_load_b64 s[8:9], s[0:1], 0x50
	s_load_b64 s[10:11], s[0:1], 0x18
	v_lshrrev_b32_e32 v9, 4, v0
	v_mov_b32_e32 v3, 0
	v_mov_b32_e32 v1, 0
	;; [unrolled: 1-line block ×3, first 2 shown]
	s_delay_alu instid0(VALU_DEP_4) | instskip(NEXT) | instid1(VALU_DEP_4)
	v_lshl_or_b32 v5, ttmp9, 2, v9
	v_mov_b32_e32 v6, v3
	s_wait_kmcnt 0x0
	v_cmp_lt_u64_e64 s2, s[6:7], 2
	s_delay_alu instid0(VALU_DEP_1)
	s_and_b32 vcc_lo, exec_lo, s2
	s_cbranch_vccnz .LBB0_8
; %bb.1:
	s_load_b64 s[2:3], s[0:1], 0x10
	v_mov_b32_e32 v1, 0
	v_mov_b32_e32 v2, 0
	s_add_nc_u64 s[12:13], s[10:11], 8
	s_mov_b64 s[14:15], 1
	s_wait_kmcnt 0x0
	s_add_nc_u64 s[16:17], s[2:3], 8
	s_mov_b32 s3, 0
.LBB0_2:                                ; =>This Inner Loop Header: Depth=1
	s_load_b64 s[18:19], s[16:17], 0x0
                                        ; implicit-def: $vgpr7_vgpr8
	s_mov_b32 s2, exec_lo
	s_wait_kmcnt 0x0
	v_or_b32_e32 v4, s19, v6
	s_delay_alu instid0(VALU_DEP_1)
	v_cmpx_ne_u64_e32 0, v[3:4]
	s_wait_alu 0xfffe
	s_xor_b32 s20, exec_lo, s2
	s_cbranch_execz .LBB0_4
; %bb.3:                                ;   in Loop: Header=BB0_2 Depth=1
	s_cvt_f32_u32 s2, s18
	s_cvt_f32_u32 s21, s19
	s_sub_nc_u64 s[24:25], 0, s[18:19]
	s_wait_alu 0xfffe
	s_delay_alu instid0(SALU_CYCLE_1) | instskip(SKIP_1) | instid1(SALU_CYCLE_2)
	s_fmamk_f32 s2, s21, 0x4f800000, s2
	s_wait_alu 0xfffe
	v_s_rcp_f32 s2, s2
	s_delay_alu instid0(TRANS32_DEP_1) | instskip(SKIP_1) | instid1(SALU_CYCLE_2)
	s_mul_f32 s2, s2, 0x5f7ffffc
	s_wait_alu 0xfffe
	s_mul_f32 s21, s2, 0x2f800000
	s_wait_alu 0xfffe
	s_delay_alu instid0(SALU_CYCLE_2) | instskip(SKIP_1) | instid1(SALU_CYCLE_2)
	s_trunc_f32 s21, s21
	s_wait_alu 0xfffe
	s_fmamk_f32 s2, s21, 0xcf800000, s2
	s_cvt_u32_f32 s23, s21
	s_wait_alu 0xfffe
	s_delay_alu instid0(SALU_CYCLE_1) | instskip(SKIP_1) | instid1(SALU_CYCLE_2)
	s_cvt_u32_f32 s22, s2
	s_wait_alu 0xfffe
	s_mul_u64 s[26:27], s[24:25], s[22:23]
	s_wait_alu 0xfffe
	s_mul_hi_u32 s29, s22, s27
	s_mul_i32 s28, s22, s27
	s_mul_hi_u32 s2, s22, s26
	s_mul_i32 s30, s23, s26
	s_wait_alu 0xfffe
	s_add_nc_u64 s[28:29], s[2:3], s[28:29]
	s_mul_hi_u32 s21, s23, s26
	s_mul_hi_u32 s31, s23, s27
	s_add_co_u32 s2, s28, s30
	s_wait_alu 0xfffe
	s_add_co_ci_u32 s2, s29, s21
	s_mul_i32 s26, s23, s27
	s_add_co_ci_u32 s27, s31, 0
	s_wait_alu 0xfffe
	s_add_nc_u64 s[26:27], s[2:3], s[26:27]
	s_wait_alu 0xfffe
	v_add_co_u32 v4, s2, s22, s26
	s_delay_alu instid0(VALU_DEP_1) | instskip(SKIP_1) | instid1(VALU_DEP_1)
	s_cmp_lg_u32 s2, 0
	s_add_co_ci_u32 s23, s23, s27
	v_readfirstlane_b32 s22, v4
	s_wait_alu 0xfffe
	s_delay_alu instid0(VALU_DEP_1)
	s_mul_u64 s[24:25], s[24:25], s[22:23]
	s_wait_alu 0xfffe
	s_mul_hi_u32 s27, s22, s25
	s_mul_i32 s26, s22, s25
	s_mul_hi_u32 s2, s22, s24
	s_mul_i32 s28, s23, s24
	s_wait_alu 0xfffe
	s_add_nc_u64 s[26:27], s[2:3], s[26:27]
	s_mul_hi_u32 s21, s23, s24
	s_mul_hi_u32 s22, s23, s25
	s_wait_alu 0xfffe
	s_add_co_u32 s2, s26, s28
	s_add_co_ci_u32 s2, s27, s21
	s_mul_i32 s24, s23, s25
	s_add_co_ci_u32 s25, s22, 0
	s_wait_alu 0xfffe
	s_add_nc_u64 s[24:25], s[2:3], s[24:25]
	s_wait_alu 0xfffe
	v_add_co_u32 v4, s2, v4, s24
	s_delay_alu instid0(VALU_DEP_1) | instskip(SKIP_1) | instid1(VALU_DEP_1)
	s_cmp_lg_u32 s2, 0
	s_add_co_ci_u32 s2, s23, s25
	v_mul_hi_u32 v14, v5, v4
	s_wait_alu 0xfffe
	v_mad_co_u64_u32 v[7:8], null, v5, s2, 0
	v_mad_co_u64_u32 v[10:11], null, v6, v4, 0
	;; [unrolled: 1-line block ×3, first 2 shown]
	s_delay_alu instid0(VALU_DEP_3) | instskip(SKIP_1) | instid1(VALU_DEP_4)
	v_add_co_u32 v4, vcc_lo, v14, v7
	s_wait_alu 0xfffd
	v_add_co_ci_u32_e32 v7, vcc_lo, 0, v8, vcc_lo
	s_delay_alu instid0(VALU_DEP_2) | instskip(SKIP_1) | instid1(VALU_DEP_2)
	v_add_co_u32 v4, vcc_lo, v4, v10
	s_wait_alu 0xfffd
	v_add_co_ci_u32_e32 v4, vcc_lo, v7, v11, vcc_lo
	s_wait_alu 0xfffd
	v_add_co_ci_u32_e32 v7, vcc_lo, 0, v13, vcc_lo
	s_delay_alu instid0(VALU_DEP_2) | instskip(SKIP_1) | instid1(VALU_DEP_2)
	v_add_co_u32 v4, vcc_lo, v4, v12
	s_wait_alu 0xfffd
	v_add_co_ci_u32_e32 v10, vcc_lo, 0, v7, vcc_lo
	s_delay_alu instid0(VALU_DEP_2) | instskip(SKIP_1) | instid1(VALU_DEP_3)
	v_mul_lo_u32 v11, s19, v4
	v_mad_co_u64_u32 v[7:8], null, s18, v4, 0
	v_mul_lo_u32 v12, s18, v10
	s_delay_alu instid0(VALU_DEP_2) | instskip(NEXT) | instid1(VALU_DEP_2)
	v_sub_co_u32 v7, vcc_lo, v5, v7
	v_add3_u32 v8, v8, v12, v11
	s_delay_alu instid0(VALU_DEP_1) | instskip(SKIP_1) | instid1(VALU_DEP_1)
	v_sub_nc_u32_e32 v11, v6, v8
	s_wait_alu 0xfffd
	v_subrev_co_ci_u32_e64 v11, s2, s19, v11, vcc_lo
	v_add_co_u32 v12, s2, v4, 2
	s_wait_alu 0xf1ff
	v_add_co_ci_u32_e64 v13, s2, 0, v10, s2
	v_sub_co_u32 v14, s2, v7, s18
	v_sub_co_ci_u32_e32 v8, vcc_lo, v6, v8, vcc_lo
	s_wait_alu 0xf1ff
	v_subrev_co_ci_u32_e64 v11, s2, 0, v11, s2
	s_delay_alu instid0(VALU_DEP_3) | instskip(NEXT) | instid1(VALU_DEP_3)
	v_cmp_le_u32_e32 vcc_lo, s18, v14
	v_cmp_eq_u32_e64 s2, s19, v8
	s_wait_alu 0xfffd
	v_cndmask_b32_e64 v14, 0, -1, vcc_lo
	v_cmp_le_u32_e32 vcc_lo, s19, v11
	s_wait_alu 0xfffd
	v_cndmask_b32_e64 v15, 0, -1, vcc_lo
	v_cmp_le_u32_e32 vcc_lo, s18, v7
	;; [unrolled: 3-line block ×3, first 2 shown]
	s_wait_alu 0xfffd
	v_cndmask_b32_e64 v16, 0, -1, vcc_lo
	v_cmp_eq_u32_e32 vcc_lo, s19, v11
	s_wait_alu 0xf1ff
	s_delay_alu instid0(VALU_DEP_2)
	v_cndmask_b32_e64 v7, v16, v7, s2
	s_wait_alu 0xfffd
	v_cndmask_b32_e32 v11, v15, v14, vcc_lo
	v_add_co_u32 v14, vcc_lo, v4, 1
	s_wait_alu 0xfffd
	v_add_co_ci_u32_e32 v15, vcc_lo, 0, v10, vcc_lo
	s_delay_alu instid0(VALU_DEP_3) | instskip(SKIP_1) | instid1(VALU_DEP_2)
	v_cmp_ne_u32_e32 vcc_lo, 0, v11
	s_wait_alu 0xfffd
	v_dual_cndmask_b32 v8, v15, v13 :: v_dual_cndmask_b32 v11, v14, v12
	v_cmp_ne_u32_e32 vcc_lo, 0, v7
	s_wait_alu 0xfffd
	s_delay_alu instid0(VALU_DEP_2)
	v_dual_cndmask_b32 v8, v10, v8 :: v_dual_cndmask_b32 v7, v4, v11
.LBB0_4:                                ;   in Loop: Header=BB0_2 Depth=1
	s_wait_alu 0xfffe
	s_and_not1_saveexec_b32 s2, s20
	s_cbranch_execz .LBB0_6
; %bb.5:                                ;   in Loop: Header=BB0_2 Depth=1
	v_cvt_f32_u32_e32 v4, s18
	s_sub_co_i32 s20, 0, s18
	s_delay_alu instid0(VALU_DEP_1) | instskip(NEXT) | instid1(TRANS32_DEP_1)
	v_rcp_iflag_f32_e32 v4, v4
	v_mul_f32_e32 v4, 0x4f7ffffe, v4
	s_delay_alu instid0(VALU_DEP_1) | instskip(SKIP_1) | instid1(VALU_DEP_1)
	v_cvt_u32_f32_e32 v4, v4
	s_wait_alu 0xfffe
	v_mul_lo_u32 v7, s20, v4
	s_delay_alu instid0(VALU_DEP_1) | instskip(NEXT) | instid1(VALU_DEP_1)
	v_mul_hi_u32 v7, v4, v7
	v_add_nc_u32_e32 v4, v4, v7
	s_delay_alu instid0(VALU_DEP_1) | instskip(NEXT) | instid1(VALU_DEP_1)
	v_mul_hi_u32 v4, v5, v4
	v_mul_lo_u32 v7, v4, s18
	v_add_nc_u32_e32 v8, 1, v4
	s_delay_alu instid0(VALU_DEP_2) | instskip(NEXT) | instid1(VALU_DEP_1)
	v_sub_nc_u32_e32 v7, v5, v7
	v_subrev_nc_u32_e32 v10, s18, v7
	v_cmp_le_u32_e32 vcc_lo, s18, v7
	s_wait_alu 0xfffd
	s_delay_alu instid0(VALU_DEP_2) | instskip(NEXT) | instid1(VALU_DEP_1)
	v_dual_cndmask_b32 v7, v7, v10 :: v_dual_cndmask_b32 v4, v4, v8
	v_cmp_le_u32_e32 vcc_lo, s18, v7
	s_delay_alu instid0(VALU_DEP_2) | instskip(SKIP_1) | instid1(VALU_DEP_1)
	v_add_nc_u32_e32 v8, 1, v4
	s_wait_alu 0xfffd
	v_dual_cndmask_b32 v7, v4, v8 :: v_dual_mov_b32 v8, v3
.LBB0_6:                                ;   in Loop: Header=BB0_2 Depth=1
	s_wait_alu 0xfffe
	s_or_b32 exec_lo, exec_lo, s2
	s_load_b64 s[20:21], s[12:13], 0x0
	s_delay_alu instid0(VALU_DEP_1)
	v_mul_lo_u32 v4, v8, s18
	v_mul_lo_u32 v12, v7, s19
	v_mad_co_u64_u32 v[10:11], null, v7, s18, 0
	s_add_nc_u64 s[14:15], s[14:15], 1
	s_add_nc_u64 s[12:13], s[12:13], 8
	s_wait_alu 0xfffe
	v_cmp_ge_u64_e64 s2, s[14:15], s[6:7]
	s_add_nc_u64 s[16:17], s[16:17], 8
	s_delay_alu instid0(VALU_DEP_2) | instskip(NEXT) | instid1(VALU_DEP_3)
	v_add3_u32 v4, v11, v12, v4
	v_sub_co_u32 v5, vcc_lo, v5, v10
	s_wait_alu 0xfffd
	s_delay_alu instid0(VALU_DEP_2) | instskip(SKIP_3) | instid1(VALU_DEP_2)
	v_sub_co_ci_u32_e32 v4, vcc_lo, v6, v4, vcc_lo
	s_and_b32 vcc_lo, exec_lo, s2
	s_wait_kmcnt 0x0
	v_mul_lo_u32 v6, s21, v5
	v_mul_lo_u32 v4, s20, v4
	v_mad_co_u64_u32 v[1:2], null, s20, v5, v[1:2]
	s_delay_alu instid0(VALU_DEP_1)
	v_add3_u32 v2, v6, v2, v4
	s_wait_alu 0xfffe
	s_cbranch_vccnz .LBB0_9
; %bb.7:                                ;   in Loop: Header=BB0_2 Depth=1
	v_dual_mov_b32 v5, v7 :: v_dual_mov_b32 v6, v8
	s_branch .LBB0_2
.LBB0_8:
	v_dual_mov_b32 v8, v6 :: v_dual_mov_b32 v7, v5
.LBB0_9:
	s_lshl_b64 s[2:3], s[6:7], 3
	v_and_b32_e32 v20, 15, v0
	s_wait_alu 0xfffe
	s_add_nc_u64 s[2:3], s[10:11], s[2:3]
	s_load_b64 s[2:3], s[2:3], 0x0
	s_load_b64 s[0:1], s[0:1], 0x20
	v_or_b32_e32 v24, 16, v20
	v_or_b32_e32 v36, 0x50, v20
	;; [unrolled: 1-line block ×9, first 2 shown]
	s_wait_kmcnt 0x0
	v_mul_lo_u32 v3, s2, v8
	v_mul_lo_u32 v4, s3, v7
	v_mad_co_u64_u32 v[0:1], null, s2, v7, v[1:2]
	v_cmp_gt_u64_e32 vcc_lo, s[0:1], v[7:8]
	v_cmp_le_u64_e64 s0, s[0:1], v[7:8]
	s_delay_alu instid0(VALU_DEP_3) | instskip(NEXT) | instid1(VALU_DEP_2)
	v_add3_u32 v1, v4, v1, v3
	s_and_saveexec_b32 s1, s0
	s_wait_alu 0xfffe
	s_xor_b32 s0, exec_lo, s1
	s_cbranch_execz .LBB0_11
; %bb.10:
	v_mov_b32_e32 v21, 0
	v_or_b32_e32 v24, 16, v20
	v_or_b32_e32 v36, 0x50, v20
	;; [unrolled: 1-line block ×9, first 2 shown]
	v_mov_b32_e32 v25, v21
	v_mov_b32_e32 v29, v21
	v_mov_b32_e32 v41, v21
	v_mov_b32_e32 v39, v21
	v_mov_b32_e32 v37, v21
	v_mov_b32_e32 v35, v21
	v_mov_b32_e32 v33, v21
	v_mov_b32_e32 v31, v21
	v_mov_b32_e32 v27, v21
.LBB0_11:
	s_wait_alu 0xfffe
	s_or_saveexec_b32 s1, s0
	v_mul_u32_u24_e32 v2, 0x141, v9
	v_lshlrev_b64_e32 v[22:23], 4, v[0:1]
	v_lshlrev_b32_e32 v102, 4, v20
	s_delay_alu instid0(VALU_DEP_3)
	v_lshlrev_b32_e32 v105, 4, v2
	s_wait_alu 0xfffe
	s_xor_b32 exec_lo, exec_lo, s1
	s_cbranch_execz .LBB0_13
; %bb.12:
	v_add_co_u32 v0, s0, s8, v22
	s_wait_alu 0xf1ff
	v_add_co_ci_u32_e64 v1, s0, s9, v23, s0
	v_mov_b32_e32 v21, 0
	s_delay_alu instid0(VALU_DEP_3) | instskip(SKIP_1) | instid1(VALU_DEP_3)
	v_add_co_u32 v98, s0, v0, v102
	s_wait_alu 0xf1ff
	v_add_co_ci_u32_e64 v99, s0, 0, v1, s0
	v_add3_u32 v103, 0, v105, v102
	v_mov_b32_e32 v25, v21
	v_mov_b32_e32 v29, v21
	s_clause 0x13
	global_load_b128 v[0:3], v[98:99], off
	global_load_b128 v[4:7], v[98:99], off offset:256
	global_load_b128 v[8:11], v[98:99], off offset:512
	;; [unrolled: 1-line block ×19, first 2 shown]
	v_mov_b32_e32 v41, v21
	v_mov_b32_e32 v39, v21
	;; [unrolled: 1-line block ×7, first 2 shown]
	s_wait_loadcnt 0x13
	ds_store_b128 v103, v[0:3]
	s_wait_loadcnt 0x12
	ds_store_b128 v103, v[4:7] offset:256
	s_wait_loadcnt 0x11
	ds_store_b128 v103, v[8:11] offset:512
	;; [unrolled: 2-line block ×19, first 2 shown]
.LBB0_13:
	s_or_b32 exec_lo, exec_lo, s1
	v_add3_u32 v104, 0, v102, v105
	global_wb scope:SCOPE_SE
	s_wait_dscnt 0x0
	s_barrier_signal -1
	s_barrier_wait -1
	global_inv scope:SCOPE_SE
	ds_load_b128 v[4:7], v104 offset:1536
	ds_load_b128 v[0:3], v104 offset:512
	;; [unrolled: 1-line block ×4, first 2 shown]
	v_add_nc_u32_e32 v106, 0, v105
	ds_load_b128 v[46:49], v104 offset:2560
	s_mov_b32 s2, 0x134454ff
	s_mov_b32 s3, 0xbfee6f0e
	;; [unrolled: 1-line block ×3, first 2 shown]
	v_add_nc_u32_e32 v103, v106, v102
	ds_load_b128 v[50:53], v104 offset:3584
	ds_load_b128 v[54:57], v104 offset:4608
	;; [unrolled: 1-line block ×3, first 2 shown]
	ds_load_b128 v[62:65], v103
	ds_load_b128 v[66:69], v104 offset:256
	ds_load_b128 v[70:73], v104 offset:2816
	ds_load_b128 v[74:77], v104 offset:3840
	ds_load_b128 v[8:11], v104 offset:4864
	ds_load_b128 v[78:81], v104 offset:2048
	ds_load_b128 v[82:85], v104 offset:2304
	ds_load_b128 v[86:89], v104 offset:3072
	ds_load_b128 v[90:93], v104 offset:3328
	ds_load_b128 v[94:97], v104 offset:1280
	ds_load_b128 v[12:15], v104 offset:4096
	ds_load_b128 v[98:101], v104 offset:4352
	s_wait_alu 0xfffe
	s_mov_b32 s0, s2
	s_mov_b32 s12, 0x4755a5e
	;; [unrolled: 1-line block ×8, first 2 shown]
	s_wait_dscnt 0x12
	v_add_f64_e32 v[109:110], v[2:3], v[6:7]
	v_add_f64_e32 v[107:108], v[0:1], v[4:5]
	s_wait_dscnt 0x10
	v_add_f64_e32 v[113:114], v[18:19], v[44:45]
	v_add_f64_e32 v[111:112], v[16:17], v[42:43]
	;; [unrolled: 3-line block ×3, first 2 shown]
	v_add_f64_e32 v[115:116], v[46:47], v[50:51]
	v_add_f64_e32 v[117:118], v[4:5], v[54:55]
	;; [unrolled: 1-line block ×4, first 2 shown]
	v_add_f64_e64 v[127:128], v[6:7], -v[56:57]
	v_add_f64_e64 v[129:130], v[48:49], -v[52:53]
	;; [unrolled: 1-line block ×7, first 2 shown]
	s_wait_dscnt 0x8
	v_add_f64_e32 v[131:132], v[70:71], v[74:75]
	s_wait_dscnt 0x7
	v_add_f64_e32 v[133:134], v[42:43], v[8:9]
	v_add_f64_e32 v[135:136], v[72:73], v[76:77]
	v_add_f64_e32 v[137:138], v[44:45], v[10:11]
	v_add_f64_e64 v[4:5], v[4:5], -v[54:55]
	s_wait_dscnt 0x3
	v_add_f64_e32 v[175:176], v[84:85], v[92:93]
	s_wait_dscnt 0x0
	v_add_f64_e32 v[177:178], v[96:97], v[100:101]
	v_add_f64_e64 v[141:142], v[54:55], -v[50:51]
	v_add_f64_e32 v[149:150], v[66:67], v[94:95]
	v_add_f64_e32 v[151:152], v[68:69], v[96:97]
	;; [unrolled: 1-line block ×5, first 2 shown]
	v_add_f64_e64 v[163:164], v[56:57], -v[52:53]
	v_add_f64_e64 v[167:168], v[52:53], -v[56:57]
	;; [unrolled: 1-line block ×5, first 2 shown]
	v_add_f64_e32 v[159:160], v[60:61], v[14:15]
	v_add_f64_e64 v[145:146], v[50:51], -v[54:55]
	v_add_f64_e32 v[165:166], v[82:83], v[90:91]
	v_add_f64_e32 v[48:49], v[109:110], v[48:49]
	;; [unrolled: 1-line block ×7, first 2 shown]
	v_fma_f64 v[115:116], v[115:116], -0.5, v[0:1]
	v_fma_f64 v[0:1], v[117:118], -0.5, v[0:1]
	;; [unrolled: 1-line block ×4, first 2 shown]
	v_add_f64_e64 v[111:112], v[44:45], -v[10:11]
	v_add_f64_e64 v[70:71], v[70:71], -v[74:75]
	;; [unrolled: 1-line block ×3, first 2 shown]
	v_add_f64_e32 v[173:174], v[94:95], v[98:99]
	v_add_f64_e64 v[113:114], v[72:73], -v[76:77]
	v_add_f64_e64 v[171:172], v[8:9], -v[74:75]
	;; [unrolled: 1-line block ×3, first 2 shown]
	v_fma_f64 v[131:132], v[131:132], -0.5, v[16:17]
	v_fma_f64 v[16:17], v[133:134], -0.5, v[16:17]
	;; [unrolled: 1-line block ×4, first 2 shown]
	v_add_f64_e64 v[44:45], v[72:73], -v[44:45]
	v_add_f64_e64 v[72:73], v[74:75], -v[8:9]
	v_add_f64_e64 v[183:184], v[10:11], -v[76:77]
	v_add_f64_e64 v[185:186], v[76:77], -v[10:11]
	v_add_f64_e64 v[187:188], v[60:61], -v[14:15]
	v_add_f64_e32 v[121:122], v[149:150], v[82:83]
	v_add_f64_e32 v[149:150], v[151:152], v[84:85]
	v_add_f64_e64 v[151:152], v[78:79], -v[58:59]
	v_add_f64_e64 v[58:59], v[58:59], -v[12:13]
	v_fma_f64 v[135:136], v[153:154], -0.5, v[62:63]
	v_fma_f64 v[62:63], v[155:156], -0.5, v[62:63]
	;; [unrolled: 1-line block ×3, first 2 shown]
	v_add_f64_e32 v[139:140], v[139:140], v[141:142]
	v_add_f64_e32 v[161:162], v[161:162], v[163:164]
	v_fma_f64 v[64:65], v[159:160], -0.5, v[64:65]
	v_add_f64_e64 v[78:79], v[78:79], -v[86:87]
	v_add_f64_e64 v[155:156], v[96:97], -v[100:101]
	v_add_f64_e32 v[48:49], v[48:49], v[52:53]
	v_add_f64_e32 v[46:47], v[46:47], v[50:51]
	;; [unrolled: 1-line block ×6, first 2 shown]
	v_add_f64_e64 v[125:126], v[12:13], -v[86:87]
	v_fma_f64 v[107:108], v[175:176], -0.5, v[68:69]
	v_fma_f64 v[68:69], v[177:178], -0.5, v[68:69]
	s_wait_alu 0xfffe
	v_fma_f64 v[177:178], v[4:5], s[0:1], v[117:118]
	v_fma_f64 v[117:118], v[4:5], s[2:3], v[117:118]
	v_add_f64_e64 v[74:75], v[60:61], -v[80:81]
	v_add_f64_e64 v[60:61], v[80:81], -v[60:61]
	;; [unrolled: 1-line block ×3, first 2 shown]
	v_fma_f64 v[76:77], v[165:166], -0.5, v[66:67]
	v_add_f64_e32 v[6:7], v[6:7], v[167:168]
	v_fma_f64 v[66:67], v[173:174], -0.5, v[66:67]
	v_fma_f64 v[141:142], v[111:112], s[2:3], v[131:132]
	v_add_f64_e64 v[165:166], v[96:97], -v[84:85]
	v_add_f64_e64 v[96:97], v[84:85], -v[96:97]
	v_fma_f64 v[163:164], v[70:71], s[2:3], v[18:19]
	v_fma_f64 v[18:19], v[70:71], s[0:1], v[18:19]
	v_add_f64_e64 v[84:85], v[84:85], -v[92:93]
	v_add_f64_e64 v[153:154], v[14:15], -v[88:89]
	;; [unrolled: 1-line block ×5, first 2 shown]
	v_add_f64_e32 v[169:170], v[169:170], v[171:172]
	v_add_f64_e32 v[181:182], v[181:182], v[183:184]
	;; [unrolled: 1-line block ×3, first 2 shown]
	v_fma_f64 v[167:168], v[187:188], s[2:3], v[135:136]
	v_fma_f64 v[135:136], v[187:188], s[0:1], v[135:136]
	;; [unrolled: 1-line block ×5, first 2 shown]
	v_add_f64_e64 v[86:87], v[86:87], -v[12:13]
	v_add_f64_e64 v[82:83], v[82:83], -v[90:91]
	v_fma_f64 v[16:17], v[113:114], s[2:3], v[16:17]
	v_add_f64_e32 v[48:49], v[48:49], v[56:57]
	v_fma_f64 v[56:57], v[127:128], s[2:3], v[115:116]
	v_add_f64_e32 v[46:47], v[46:47], v[54:55]
	v_fma_f64 v[54:55], v[147:148], s[2:3], v[2:3]
	v_fma_f64 v[2:3], v[147:148], s[0:1], v[2:3]
	;; [unrolled: 1-line block ×3, first 2 shown]
	v_add_f64_e32 v[119:120], v[119:120], v[125:126]
	v_fma_f64 v[125:126], v[42:43], s[0:1], v[133:134]
	v_fma_f64 v[133:134], v[42:43], s[2:3], v[133:134]
	;; [unrolled: 1-line block ×6, first 2 shown]
	v_add_f64_e64 v[88:89], v[88:89], -v[14:15]
	v_fma_f64 v[183:184], v[78:79], s[2:3], v[64:65]
	v_add_f64_e32 v[121:122], v[121:122], v[90:91]
	v_add_f64_e64 v[173:174], v[98:99], -v[90:91]
	v_fma_f64 v[141:142], v[113:114], s[12:13], v[141:142]
	v_add_f64_e64 v[90:91], v[90:91], -v[98:99]
	v_add_f64_e32 v[149:150], v[149:150], v[92:93]
	v_fma_f64 v[163:164], v[42:43], s[6:7], v[163:164]
	v_fma_f64 v[18:19], v[42:43], s[12:13], v[18:19]
	;; [unrolled: 1-line block ×3, first 2 shown]
	v_add_f64_e64 v[175:176], v[100:101], -v[92:93]
	v_add_f64_e64 v[92:93], v[92:93], -v[100:101]
	v_add_f64_e32 v[72:73], v[179:180], v[72:73]
	s_mov_b32 s16, s10
	s_mov_b32 s14, 0x9b97f4a8
	;; [unrolled: 1-line block ×4, first 2 shown]
	s_wait_alu 0xfffe
	s_mov_b32 s18, s14
	global_wb scope:SCOPE_SE
	s_barrier_signal -1
	s_barrier_wait -1
	global_inv scope:SCOPE_SE
	v_add_f64_e32 v[86:87], v[151:152], v[86:87]
	v_fma_f64 v[151:152], v[82:83], s[2:3], v[68:69]
	v_fma_f64 v[16:17], v[111:112], s[6:7], v[16:17]
	;; [unrolled: 1-line block ×11, first 2 shown]
	v_add_f64_e32 v[129:130], v[143:144], v[145:146]
	v_fma_f64 v[131:132], v[155:156], s[2:3], v[76:77]
	v_fma_f64 v[145:146], v[161:162], s[10:11], v[177:178]
	v_fma_f64 v[143:144], v[127:128], s[12:13], v[147:148]
	v_fma_f64 v[0:1], v[127:128], s[6:7], v[0:1]
	v_fma_f64 v[76:77], v[155:156], s[0:1], v[76:77]
	v_fma_f64 v[133:134], v[84:85], s[0:1], v[66:67]
	v_fma_f64 v[117:118], v[161:162], s[10:11], v[117:118]
	v_fma_f64 v[127:128], v[80:81], s[12:13], v[167:168]
	v_fma_f64 v[80:81], v[80:81], s[6:7], v[135:136]
	v_fma_f64 v[66:67], v[84:85], s[2:3], v[66:67]
	v_fma_f64 v[135:136], v[94:95], s[0:1], v[107:108]
	v_fma_f64 v[107:108], v[94:95], s[2:3], v[107:108]
	v_fma_f64 v[147:148], v[44:45], s[10:11], v[163:164]
	v_fma_f64 v[18:19], v[44:45], s[10:11], v[18:19]
	v_fma_f64 v[44:45], v[82:83], s[0:1], v[68:69]
	v_add_f64_e32 v[60:61], v[60:61], v[88:89]
	v_fma_f64 v[88:89], v[58:59], s[6:7], v[183:184]
	v_fma_f64 v[42:43], v[58:59], s[12:13], v[42:43]
	v_add_f64_e32 v[92:93], v[96:97], v[92:93]
	v_add_f64_e32 v[98:99], v[121:122], v[98:99]
	;; [unrolled: 1-line block ×3, first 2 shown]
	v_fma_f64 v[151:152], v[94:95], s[6:7], v[151:152]
	v_fma_f64 v[16:17], v[72:73], s[10:11], v[16:17]
	;; [unrolled: 1-line block ×7, first 2 shown]
	v_add_f64_e32 v[62:63], v[74:75], v[153:154]
	v_fma_f64 v[74:75], v[78:79], s[6:7], v[171:172]
	v_fma_f64 v[78:79], v[78:79], s[12:13], v[137:138]
	;; [unrolled: 1-line block ×8, first 2 shown]
	v_mul_f64_e32 v[115:116], s[12:13], v[145:146]
	v_fma_f64 v[113:114], v[129:130], s[10:11], v[143:144]
	v_fma_f64 v[0:1], v[129:130], s[10:11], v[0:1]
	;; [unrolled: 1-line block ×3, first 2 shown]
	v_add_f64_e32 v[84:85], v[159:160], v[90:91]
	v_fma_f64 v[90:91], v[155:156], s[12:13], v[133:134]
	v_fma_f64 v[64:65], v[139:140], s[10:11], v[64:65]
	v_mul_f64_e32 v[139:140], s[12:13], v[117:118]
	s_wait_alu 0xfffe
	v_mul_f64_e32 v[117:118], s[18:19], v[117:118]
	v_add_f64_e32 v[70:71], v[157:158], v[173:174]
	v_fma_f64 v[66:67], v[155:156], s[6:7], v[66:67]
	v_fma_f64 v[135:136], v[82:83], s[6:7], v[135:136]
	v_fma_f64 v[82:83], v[82:83], s[12:13], v[107:108]
	v_mul_f64_e32 v[153:154], s[2:3], v[147:148]
	v_add_f64_e32 v[143:144], v[165:166], v[175:176]
	v_mul_f64_e32 v[147:148], s[10:11], v[147:148]
	v_fma_f64 v[44:45], v[94:95], s[12:13], v[44:45]
	v_add_f64_e32 v[155:156], v[50:51], v[8:9]
	v_add_f64_e32 v[157:158], v[52:53], v[10:11]
	;; [unrolled: 1-line block ×4, first 2 shown]
	v_fma_f64 v[14:15], v[119:120], s[10:11], v[127:128]
	v_fma_f64 v[88:89], v[60:61], s[10:11], v[88:89]
	v_mul_f64_e32 v[131:132], s[6:7], v[56:57]
	v_fma_f64 v[60:61], v[60:61], s[10:11], v[42:43]
	v_mul_f64_e32 v[129:130], s[2:3], v[54:55]
	v_mul_f64_e32 v[54:55], s[10:11], v[54:55]
	v_mul_f64_e32 v[133:134], s[2:3], v[2:3]
	v_mul_f64_e32 v[2:3], s[16:17], v[2:3]
	v_fma_f64 v[52:53], v[86:87], s[10:11], v[4:5]
	v_fma_f64 v[74:75], v[62:63], s[10:11], v[74:75]
	;; [unrolled: 1-line block ×3, first 2 shown]
	v_mul_f64_e32 v[96:97], s[12:13], v[125:126]
	v_mul_f64_e32 v[107:108], s[6:7], v[137:138]
	v_fma_f64 v[141:142], v[72:73], s[10:11], v[141:142]
	v_mul_f64_e32 v[72:73], s[2:3], v[18:19]
	v_mul_f64_e32 v[18:19], s[16:17], v[18:19]
	v_fma_f64 v[58:59], v[169:170], s[10:11], v[58:59]
	;; [unrolled: 3-line block ×3, first 2 shown]
	v_fma_f64 v[56:57], v[119:120], s[10:11], v[80:81]
	v_fma_f64 v[62:63], v[62:63], s[10:11], v[78:79]
	;; [unrolled: 1-line block ×10, first 2 shown]
	v_add_f64_e64 v[70:71], v[98:99], -v[155:156]
	v_fma_f64 v[109:110], v[145:146], s[14:15], v[131:132]
	v_fma_f64 v[80:81], v[113:114], s[10:11], v[129:130]
	;; [unrolled: 1-line block ×6, first 2 shown]
	v_add_f64_e32 v[0:1], v[8:9], v[46:47]
	v_add_f64_e32 v[2:3], v[10:11], v[48:49]
	v_fma_f64 v[76:77], v[137:138], s[14:15], v[96:97]
	v_fma_f64 v[96:97], v[84:85], s[10:11], v[66:67]
	;; [unrolled: 1-line block ×9, first 2 shown]
	v_add_f64_e32 v[4:5], v[14:15], v[50:51]
	v_add_f64_e64 v[16:17], v[14:15], -v[50:51]
	v_add_f64_e64 v[8:9], v[8:9], -v[46:47]
	;; [unrolled: 1-line block ×3, first 2 shown]
	v_add_f64_e32 v[50:51], v[56:57], v[78:79]
	v_add_f64_e64 v[58:59], v[56:57], -v[78:79]
	v_add_f64_e64 v[72:73], v[100:101], -v[157:158]
	v_cmp_gt_u32_e64 s0, 10, v20
	v_add_f64_e32 v[6:7], v[74:75], v[109:110]
	v_add_f64_e64 v[18:19], v[74:75], -v[109:110]
	v_add_f64_e32 v[12:13], v[52:53], v[80:81]
	v_add_f64_e32 v[14:15], v[88:89], v[54:55]
	v_add_f64_e32 v[42:43], v[86:87], v[115:116]
	v_add_f64_e32 v[44:45], v[60:61], v[113:114]
	v_add_f64_e64 v[46:47], v[52:53], -v[80:81]
	v_add_f64_e32 v[52:53], v[62:63], v[64:65]
	v_add_f64_e64 v[48:49], v[88:89], -v[54:55]
	v_add_f64_e64 v[54:55], v[86:87], -v[115:116]
	;; [unrolled: 1-line block ×4, first 2 shown]
	v_add_f64_e32 v[74:75], v[90:91], v[107:108]
	v_add_f64_e64 v[90:91], v[90:91], -v[107:108]
	v_mul_u32_u24_e32 v107, 10, v20
	v_add_f64_e32 v[62:63], v[98:99], v[155:156]
	v_add_f64_e32 v[66:67], v[111:112], v[76:77]
	;; [unrolled: 1-line block ×3, first 2 shown]
	v_add_f64_e64 v[78:79], v[111:112], -v[76:77]
	v_add_f64_e64 v[80:81], v[119:120], -v[84:85]
	v_add_f64_e32 v[76:77], v[121:122], v[125:126]
	v_add_f64_e32 v[68:69], v[119:120], v[84:85]
	;; [unrolled: 1-line block ×4, first 2 shown]
	v_add_f64_e64 v[92:93], v[121:122], -v[125:126]
	v_add_f64_e32 v[86:87], v[117:118], v[131:132]
	v_add_f64_e32 v[88:89], v[127:128], v[135:136]
	v_add_f64_e64 v[94:95], v[96:97], -v[123:124]
	v_add_f64_e64 v[96:97], v[129:130], -v[133:134]
	;; [unrolled: 1-line block ×4, first 2 shown]
	v_lshl_add_u32 v107, v107, 4, v106
	ds_store_b128 v107, v[0:3]
	ds_store_b128 v107, v[4:7] offset:16
	v_mul_i32_i24_e32 v0, 10, v24
	v_add_nc_u32_e32 v1, -10, v20
	ds_store_b128 v107, v[12:15] offset:32
	ds_store_b128 v107, v[42:45] offset:48
	v_mov_b32_e32 v43, 0
	v_lshl_add_u32 v110, v0, 4, v106
	s_wait_alu 0xf1ff
	v_cndmask_b32_e64 v44, v1, v20, s0
	v_and_b32_e32 v0, 0xff, v24
	v_and_b32_e32 v3, 0xff, v28
	ds_store_b128 v107, v[50:53] offset:64
	ds_store_b128 v107, v[8:11] offset:80
	;; [unrolled: 1-line block ×4, first 2 shown]
	v_mul_i32_i24_e32 v42, 3, v44
	v_mul_lo_u16 v2, 0xcd, v0
	v_mul_lo_u16 v3, 0xcd, v3
	ds_store_b128 v107, v[54:57] offset:128
	ds_store_b128 v107, v[58:61] offset:144
	ds_store_b128 v110, v[62:65]
	ds_store_b128 v110, v[66:69] offset:16
	v_lshlrev_b64_e32 v[0:1], 4, v[42:43]
	v_lshrrev_b16 v42, 11, v2
	v_lshrrev_b16 v47, 11, v3
	ds_store_b128 v110, v[74:77] offset:32
	ds_store_b128 v110, v[82:85] offset:48
	;; [unrolled: 1-line block ×8, first 2 shown]
	v_mul_lo_u16 v2, v42, 10
	v_add_co_u32 v0, s0, s4, v0
	s_wait_alu 0xf1ff
	v_add_co_ci_u32_e64 v1, s0, s5, v1, s0
	s_delay_alu instid0(VALU_DEP_3)
	v_sub_nc_u16 v2, v24, v2
	v_mul_lo_u16 v3, v47, 10
	global_wb scope:SCOPE_SE
	s_wait_dscnt 0x0
	s_barrier_signal -1
	s_barrier_wait -1
	global_inv scope:SCOPE_SE
	s_clause 0x1
	global_load_b128 v[16:19], v[0:1], off
	global_load_b128 v[4:7], v[0:1], off offset:16
	v_and_b32_e32 v45, 0xff, v2
	global_load_b128 v[12:15], v[0:1], off offset:32
	v_sub_nc_u16 v0, v28, v3
	v_and_b32_e32 v49, 0xff, v40
	v_lshl_add_u32 v109, v36, 4, v106
	v_mul_u32_u24_e32 v2, 3, v45
	v_lshl_add_u32 v108, v34, 4, v106
	v_and_b32_e32 v46, 0xff, v0
	v_lshl_add_u32 v107, v32, 4, v106
	v_mad_i32_i24 v115, 0xffffff70, v24, v110
	v_lshlrev_b32_e32 v48, 4, v2
	v_lshl_add_u32 v114, v28, 4, v106
	v_mul_u32_u24_e32 v50, 3, v46
	v_lshl_add_u32 v111, v30, 4, v106
	v_lshl_add_u32 v110, v26, 4, v106
	s_clause 0x1
	global_load_b128 v[8:11], v48, s[4:5]
	global_load_b128 v[0:3], v48, s[4:5] offset:16
	v_lshlrev_b32_e32 v64, 4, v50
	global_load_b128 v[52:55], v48, s[4:5] offset:32
	v_lshl_add_u32 v113, v40, 4, v106
	v_lshl_add_u32 v112, v38, 4, v106
	v_cmp_lt_u32_e64 s0, 9, v20
	global_load_b128 v[56:59], v64, s[4:5]
	v_mul_lo_u16 v48, 0xcd, v49
	v_and_b32_e32 v49, 0xff, v38
	global_load_b128 v[60:63], v64, s[4:5] offset:16
	v_and_b32_e32 v42, 0xffff, v42
	v_lshlrev_b32_e32 v44, 4, v44
	v_lshrrev_b16 v48, 11, v48
	v_mul_lo_u16 v49, 0xcd, v49
	v_and_b32_e32 v47, 0xffff, v47
	v_lshlrev_b32_e32 v45, 4, v45
	v_lshlrev_b32_e32 v46, 4, v46
	v_mul_lo_u16 v51, v48, 10
	v_lshrrev_b16 v50, 11, v49
	v_and_b32_e32 v48, 0xffff, v48
	v_mad_u32_u24 v47, 0x280, v47, 0
	s_delay_alu instid0(VALU_DEP_4) | instskip(NEXT) | instid1(VALU_DEP_4)
	v_sub_nc_u16 v49, v40, v51
	v_mul_lo_u16 v51, v50, 10
	v_and_b32_e32 v50, 0xffff, v50
	v_mad_u32_u24 v48, 0x280, v48, 0
	v_add3_u32 v46, v47, v46, v105
	v_and_b32_e32 v49, 0xff, v49
	v_sub_nc_u16 v51, v38, v51
	v_mad_u32_u24 v50, 0x280, v50, 0
	s_delay_alu instid0(VALU_DEP_3) | instskip(NEXT) | instid1(VALU_DEP_3)
	v_mul_u32_u24_e32 v65, 3, v49
	v_and_b32_e32 v51, 0xff, v51
	v_lshlrev_b32_e32 v49, 4, v49
	s_delay_alu instid0(VALU_DEP_3) | instskip(NEXT) | instid1(VALU_DEP_3)
	v_lshlrev_b32_e32 v76, 4, v65
	v_mul_u32_u24_e32 v77, 3, v51
	s_clause 0x2
	global_load_b128 v[64:67], v64, s[4:5] offset:32
	global_load_b128 v[68:71], v76, s[4:5]
	global_load_b128 v[72:75], v76, s[4:5] offset:16
	v_lshlrev_b32_e32 v88, 4, v77
	s_clause 0x3
	global_load_b128 v[76:79], v76, s[4:5] offset:32
	global_load_b128 v[80:83], v88, s[4:5]
	global_load_b128 v[84:87], v88, s[4:5] offset:16
	global_load_b128 v[88:91], v88, s[4:5] offset:32
	ds_load_b128 v[92:95], v109
	ds_load_b128 v[96:99], v104 offset:2560
	ds_load_b128 v[116:119], v104 offset:3840
	ds_load_b128 v[120:123], v108
	ds_load_b128 v[124:127], v104 offset:2816
	ds_load_b128 v[128:131], v104 offset:4864
	;; [unrolled: 1-line block ×3, first 2 shown]
	ds_load_b128 v[136:139], v103
	ds_load_b128 v[140:143], v107
	ds_load_b128 v[144:147], v104 offset:3072
	ds_load_b128 v[148:151], v115
	ds_load_b128 v[156:159], v104 offset:4352
	ds_load_b128 v[152:155], v114
	v_lshlrev_b32_e32 v51, 4, v51
	v_add3_u32 v47, v48, v49, v105
	s_delay_alu instid0(VALU_DEP_2)
	v_add3_u32 v48, v50, v51, v105
	s_wait_loadcnt_dscnt 0xe0c
	v_mul_f64_e32 v[100:101], v[94:95], v[18:19]
	v_mul_f64_e32 v[18:19], v[92:93], v[18:19]
	s_wait_loadcnt_dscnt 0xd0b
	v_mul_f64_e32 v[160:161], v[98:99], v[6:7]
	v_mul_f64_e32 v[6:7], v[96:97], v[6:7]
	;; [unrolled: 3-line block ×8, first 2 shown]
	v_fma_f64 v[100:101], v[92:93], v[16:17], v[100:101]
	v_fma_f64 v[18:19], v[94:95], v[16:17], -v[18:19]
	ds_load_b128 v[14:17], v111
	ds_load_b128 v[92:95], v104 offset:3328
	v_fma_f64 v[160:161], v[96:97], v[4:5], v[160:161]
	v_fma_f64 v[180:181], v[98:99], v[4:5], -v[6:7]
	ds_load_b128 v[2:5], v104 offset:4608
	ds_load_b128 v[96:99], v110
	v_fma_f64 v[162:163], v[116:117], v[12:13], v[162:163]
	v_fma_f64 v[164:165], v[118:119], v[12:13], -v[164:165]
	ds_load_b128 v[10:13], v104 offset:3584
	v_fma_f64 v[120:121], v[120:121], v[8:9], v[166:167]
	v_fma_f64 v[122:123], v[122:123], v[8:9], -v[168:169]
	s_wait_loadcnt_dscnt 0x606
	v_mul_f64_e32 v[166:167], v[158:159], v[66:67]
	v_mul_f64_e32 v[66:67], v[156:157], v[66:67]
	v_fma_f64 v[124:125], v[124:125], v[0:1], v[170:171]
	v_fma_f64 v[0:1], v[126:127], v[0:1], -v[172:173]
	s_wait_loadcnt_dscnt 0x504
	v_mul_f64_e32 v[126:127], v[16:17], v[70:71]
	v_mul_f64_e32 v[70:71], v[14:15], v[70:71]
	s_wait_loadcnt_dscnt 0x403
	v_mul_f64_e32 v[168:169], v[94:95], v[74:75]
	v_fma_f64 v[132:133], v[132:133], v[52:53], v[174:175]
	v_fma_f64 v[52:53], v[134:135], v[52:53], -v[54:55]
	v_mul_f64_e32 v[54:55], v[92:93], v[74:75]
	s_wait_loadcnt_dscnt 0x302
	v_mul_f64_e32 v[74:75], v[4:5], v[78:79]
	v_mul_f64_e32 v[78:79], v[2:3], v[78:79]
	s_wait_loadcnt_dscnt 0x201
	v_mul_f64_e32 v[134:135], v[98:99], v[82:83]
	v_fma_f64 v[140:141], v[140:141], v[56:57], v[176:177]
	v_fma_f64 v[56:57], v[142:143], v[56:57], -v[58:59]
	v_mul_f64_e32 v[58:59], v[96:97], v[82:83]
	s_wait_loadcnt_dscnt 0x100
	v_mul_f64_e32 v[82:83], v[12:13], v[86:87]
	v_mul_f64_e32 v[86:87], v[10:11], v[86:87]
	s_wait_loadcnt 0x0
	v_mul_f64_e32 v[142:143], v[130:131], v[90:91]
	v_fma_f64 v[144:145], v[144:145], v[60:61], v[178:179]
	v_fma_f64 v[60:61], v[146:147], v[60:61], -v[62:63]
	v_mul_f64_e32 v[62:63], v[128:129], v[90:91]
	ds_load_b128 v[6:9], v113
	ds_load_b128 v[116:119], v112
	global_wb scope:SCOPE_SE
	s_wait_dscnt 0x0
	s_barrier_signal -1
	s_barrier_wait -1
	global_inv scope:SCOPE_SE
	v_fma_f64 v[90:91], v[156:157], v[64:65], v[166:167]
	v_fma_f64 v[64:65], v[158:159], v[64:65], -v[66:67]
	v_fma_f64 v[14:15], v[14:15], v[68:69], v[126:127]
	v_fma_f64 v[16:17], v[16:17], v[68:69], -v[70:71]
	v_fma_f64 v[66:67], v[92:93], v[72:73], v[168:169]
	v_add_f64_e64 v[52:53], v[122:123], -v[52:53]
	v_fma_f64 v[54:55], v[94:95], v[72:73], -v[54:55]
	v_fma_f64 v[2:3], v[2:3], v[76:77], v[74:75]
	v_fma_f64 v[4:5], v[4:5], v[76:77], -v[78:79]
	v_fma_f64 v[68:69], v[96:97], v[80:81], v[134:135]
	v_add_f64_e64 v[72:73], v[136:137], -v[160:161]
	v_add_f64_e64 v[74:75], v[138:139], -v[180:181]
	v_fma_f64 v[58:59], v[98:99], v[80:81], -v[58:59]
	v_fma_f64 v[10:11], v[10:11], v[84:85], v[82:83]
	v_fma_f64 v[12:13], v[12:13], v[84:85], -v[86:87]
	v_fma_f64 v[70:71], v[128:129], v[88:89], v[142:143]
	v_add_f64_e64 v[76:77], v[100:101], -v[162:163]
	v_add_f64_e64 v[78:79], v[18:19], -v[164:165]
	v_fma_f64 v[62:63], v[130:131], v[88:89], -v[62:63]
	v_add_f64_e64 v[80:81], v[148:149], -v[124:125]
	v_add_f64_e64 v[88:89], v[150:151], -v[0:1]
	;; [unrolled: 1-line block ×11, first 2 shown]
	v_fma_f64 v[54:55], v[122:123], 2.0, -v[52:53]
	v_fma_f64 v[90:91], v[136:137], 2.0, -v[72:73]
	;; [unrolled: 1-line block ×3, first 2 shown]
	v_add_f64_e64 v[126:127], v[116:117], -v[10:11]
	v_add_f64_e64 v[128:129], v[118:119], -v[12:13]
	;; [unrolled: 1-line block ×3, first 2 shown]
	v_fma_f64 v[10:11], v[100:101], 2.0, -v[76:77]
	v_fma_f64 v[12:13], v[18:19], 2.0, -v[78:79]
	v_add_f64_e64 v[70:71], v[58:59], -v[62:63]
	v_fma_f64 v[100:101], v[148:149], 2.0, -v[80:81]
	v_fma_f64 v[130:131], v[150:151], 2.0, -v[88:89]
	;; [unrolled: 1-line block ×5, first 2 shown]
	v_add_f64_e32 v[0:1], v[72:73], v[78:79]
	v_add_f64_e64 v[2:3], v[74:75], -v[76:77]
	v_add_f64_e32 v[4:5], v[80:81], v[52:53]
	v_mul_u32_u24_e32 v76, 3, v20
	s_wait_alu 0xf1ff
	v_cndmask_b32_e64 v77, 0, 0x280, s0
	v_fma_f64 v[62:63], v[140:141], 2.0, -v[60:61]
	v_fma_f64 v[56:57], v[56:57], 2.0, -v[64:65]
	;; [unrolled: 1-line block ×3, first 2 shown]
	v_add_f64_e64 v[6:7], v[88:89], -v[82:83]
	v_fma_f64 v[134:135], v[8:9], 2.0, -v[124:125]
	v_fma_f64 v[136:137], v[14:15], 2.0, -v[66:67]
	;; [unrolled: 1-line block ×3, first 2 shown]
	v_add_f64_e32 v[16:17], v[92:93], v[64:65]
	v_fma_f64 v[140:141], v[116:117], 2.0, -v[126:127]
	v_fma_f64 v[142:143], v[118:119], 2.0, -v[128:129]
	;; [unrolled: 1-line block ×3, first 2 shown]
	v_add_f64_e64 v[8:9], v[90:91], -v[10:11]
	v_add_f64_e64 v[10:11], v[94:95], -v[12:13]
	v_fma_f64 v[116:117], v[58:59], 2.0, -v[70:71]
	v_add_f64_e64 v[58:59], v[124:125], -v[66:67]
	v_add_f64_e64 v[14:15], v[130:131], -v[54:55]
	;; [unrolled: 1-line block ×4, first 2 shown]
	v_add_f64_e32 v[64:65], v[126:127], v[70:71]
	v_add_f64_e64 v[66:67], v[128:129], -v[86:87]
	v_fma_f64 v[72:73], v[72:73], 2.0, -v[0:1]
	v_fma_f64 v[74:75], v[74:75], 2.0, -v[2:3]
	v_add_f64_e64 v[52:53], v[120:121], -v[62:63]
	v_add_f64_e64 v[54:55], v[122:123], -v[56:57]
	v_add_f64_e32 v[56:57], v[98:99], v[84:85]
	v_fma_f64 v[78:79], v[88:89], 2.0, -v[6:7]
	v_add_f64_e64 v[60:61], v[132:133], -v[136:137]
	v_add_f64_e64 v[62:63], v[134:135], -v[138:139]
	v_lshlrev_b32_e32 v136, 4, v76
	v_add_nc_u32_e32 v137, 0, v77
	v_fma_f64 v[76:77], v[80:81], 2.0, -v[4:5]
	v_fma_f64 v[88:89], v[92:93], 2.0, -v[16:17]
	v_add_f64_e64 v[68:69], v[140:141], -v[68:69]
	v_fma_f64 v[80:81], v[90:91], 2.0, -v[8:9]
	v_fma_f64 v[82:83], v[94:95], 2.0, -v[10:11]
	v_add_f64_e64 v[70:71], v[142:143], -v[116:117]
	v_add3_u32 v44, v137, v44, v105
	v_fma_f64 v[86:87], v[130:131], 2.0, -v[14:15]
	v_fma_f64 v[84:85], v[100:101], 2.0, -v[12:13]
	;; [unrolled: 1-line block ×3, first 2 shown]
	v_mad_u32_u24 v100, 0x280, v42, 0
	v_mul_i32_i24_e32 v42, 3, v24
	s_delay_alu instid0(VALU_DEP_2)
	v_add3_u32 v45, v100, v45, v105
	v_fma_f64 v[92:93], v[120:121], 2.0, -v[52:53]
	v_fma_f64 v[94:95], v[122:123], 2.0, -v[54:55]
	;; [unrolled: 1-line block ×10, first 2 shown]
	ds_store_b128 v44, v[0:3] offset:480
	ds_store_b128 v44, v[8:11] offset:320
	;; [unrolled: 1-line block ×3, first 2 shown]
	ds_store_b128 v44, v[80:83]
	ds_store_b128 v45, v[84:87]
	ds_store_b128 v45, v[76:79] offset:160
	ds_store_b128 v45, v[12:15] offset:320
	ds_store_b128 v45, v[4:7] offset:480
	ds_store_b128 v46, v[92:95]
	ds_store_b128 v46, v[88:91] offset:160
	ds_store_b128 v46, v[52:55] offset:320
	ds_store_b128 v46, v[16:19] offset:480
	;; [unrolled: 4-line block ×4, first 2 shown]
	global_wb scope:SCOPE_SE
	s_wait_dscnt 0x0
	s_barrier_signal -1
	s_barrier_wait -1
	global_inv scope:SCOPE_SE
	global_load_b128 v[0:3], v136, s[4:5] offset:480
	v_lshlrev_b64_e32 v[12:13], 4, v[42:43]
	v_add_nc_u32_e32 v16, -8, v20
	s_clause 0x1
	global_load_b128 v[4:7], v136, s[4:5] offset:496
	global_load_b128 v[8:11], v136, s[4:5] offset:512
	v_add_co_u32 v44, s0, s4, v12
	s_wait_alu 0xf1ff
	v_add_co_ci_u32_e64 v45, s0, s5, v13, s0
	v_cmp_gt_u32_e64 s0, 40, v28
	global_load_b128 v[12:15], v[44:45], off offset:480
	s_wait_alu 0xf1ff
	v_cndmask_b32_e64 v116, v16, v28, s0
	s_clause 0x1
	global_load_b128 v[16:19], v[44:45], off offset:496
	global_load_b128 v[44:47], v[44:45], off offset:512
	v_mul_i32_i24_e32 v42, 3, v116
	s_delay_alu instid0(VALU_DEP_1) | instskip(NEXT) | instid1(VALU_DEP_1)
	v_lshlrev_b64_e32 v[42:43], 4, v[42:43]
	v_add_co_u32 v42, s0, s4, v42
	s_wait_alu 0xf1ff
	s_delay_alu instid0(VALU_DEP_2)
	v_add_co_ci_u32_e64 v43, s0, s5, v43, s0
	s_clause 0x8
	global_load_b128 v[48:51], v[42:43], off offset:480
	global_load_b128 v[52:55], v[42:43], off offset:496
	global_load_b128 v[56:59], v[42:43], off offset:512
	global_load_b128 v[60:63], v136, s[4:5] offset:864
	global_load_b128 v[64:67], v136, s[4:5] offset:880
	;; [unrolled: 1-line block ×6, first 2 shown]
	ds_load_b128 v[84:87], v109
	ds_load_b128 v[88:91], v104 offset:2560
	ds_load_b128 v[92:95], v104 offset:3840
	ds_load_b128 v[96:99], v108
	ds_load_b128 v[117:120], v104 offset:2816
	ds_load_b128 v[121:124], v104 offset:4864
	;; [unrolled: 1-line block ×3, first 2 shown]
	ds_load_b128 v[141:144], v107
	ds_load_b128 v[125:128], v103
	ds_load_b128 v[137:140], v104 offset:3072
	ds_load_b128 v[133:136], v115
	ds_load_b128 v[145:148], v104 offset:4352
	;; [unrolled: 2-line block ×3, first 2 shown]
	ds_load_b128 v[157:160], v104 offset:3328
	ds_load_b128 v[161:164], v104 offset:3584
	ds_load_b128 v[165:168], v114
	ds_load_b128 v[169:172], v113
	v_cmp_lt_u32_e64 s0, 39, v28
	s_wait_loadcnt_dscnt 0xe11
	v_mul_f64_e32 v[42:43], v[86:87], v[2:3]
	v_mul_f64_e32 v[2:3], v[84:85], v[2:3]
	s_wait_loadcnt_dscnt 0xd10
	v_mul_f64_e32 v[100:101], v[90:91], v[6:7]
	v_mul_f64_e32 v[6:7], v[88:89], v[6:7]
	;; [unrolled: 3-line block ×6, first 2 shown]
	v_fma_f64 v[84:85], v[84:85], v[0:1], v[42:43]
	v_fma_f64 v[86:87], v[86:87], v[0:1], -v[2:3]
	ds_load_b128 v[0:3], v110
	ds_load_b128 v[173:176], v112
	v_fma_f64 v[42:43], v[88:89], v[4:5], v[100:101]
	v_fma_f64 v[4:5], v[90:91], v[4:5], -v[6:7]
	s_wait_loadcnt_dscnt 0x80c
	v_mul_f64_e32 v[6:7], v[143:144], v[50:51]
	v_mul_f64_e32 v[50:51], v[141:142], v[50:51]
	v_fma_f64 v[88:89], v[92:93], v[8:9], v[177:178]
	v_fma_f64 v[8:9], v[94:95], v[8:9], -v[10:11]
	s_wait_loadcnt_dscnt 0x70a
	v_mul_f64_e32 v[10:11], v[139:140], v[54:55]
	v_mul_f64_e32 v[54:55], v[137:138], v[54:55]
	s_wait_loadcnt_dscnt 0x608
	v_mul_f64_e32 v[90:91], v[147:148], v[58:59]
	v_mul_f64_e32 v[58:59], v[145:146], v[58:59]
	global_wb scope:SCOPE_SE
	s_wait_loadcnt_dscnt 0x0
	v_fma_f64 v[92:93], v[96:97], v[12:13], v[179:180]
	v_fma_f64 v[94:95], v[98:99], v[12:13], -v[14:15]
	v_mul_f64_e32 v[12:13], v[151:152], v[62:63]
	v_mul_f64_e32 v[14:15], v[149:150], v[62:63]
	v_mul_f64_e32 v[62:63], v[159:160], v[66:67]
	v_mul_f64_e32 v[66:67], v[157:158], v[66:67]
	v_fma_f64 v[96:97], v[117:118], v[16:17], v[181:182]
	v_fma_f64 v[16:17], v[119:120], v[16:17], -v[18:19]
	v_mul_f64_e32 v[18:19], v[155:156], v[70:71]
	v_mul_f64_e32 v[70:71], v[153:154], v[70:71]
	v_mul_f64_e32 v[98:99], v[2:3], v[74:75]
	v_mul_f64_e32 v[74:75], v[0:1], v[74:75]
	v_fma_f64 v[100:101], v[129:130], v[44:45], v[183:184]
	v_fma_f64 v[44:45], v[131:132], v[44:45], -v[46:47]
	v_mul_f64_e32 v[46:47], v[163:164], v[78:79]
	v_mul_f64_e32 v[78:79], v[161:162], v[78:79]
	v_mul_f64_e32 v[117:118], v[123:124], v[82:83]
	v_mul_f64_e32 v[82:83], v[121:122], v[82:83]
	s_barrier_signal -1
	s_barrier_wait -1
	global_inv scope:SCOPE_SE
	v_fma_f64 v[119:120], v[141:142], v[48:49], v[6:7]
	v_fma_f64 v[129:130], v[143:144], v[48:49], -v[50:51]
	v_fma_f64 v[6:7], v[137:138], v[52:53], v[10:11]
	v_fma_f64 v[48:49], v[139:140], v[52:53], -v[54:55]
	v_fma_f64 v[50:51], v[145:146], v[56:57], v[90:91]
	v_fma_f64 v[52:53], v[147:148], v[56:57], -v[58:59]
	v_fma_f64 v[58:59], v[149:150], v[60:61], v[12:13]
	v_fma_f64 v[60:61], v[151:152], v[60:61], -v[14:15]
	v_fma_f64 v[12:13], v[157:158], v[64:65], v[62:63]
	v_fma_f64 v[54:55], v[159:160], v[64:65], -v[66:67]
	v_add_f64_e64 v[62:63], v[84:85], -v[88:89]
	v_add_f64_e64 v[10:11], v[135:136], -v[16:17]
	v_fma_f64 v[18:19], v[153:154], v[68:69], v[18:19]
	v_fma_f64 v[56:57], v[155:156], v[68:69], -v[70:71]
	v_fma_f64 v[98:99], v[0:1], v[72:73], v[98:99]
	v_fma_f64 v[131:132], v[2:3], v[72:73], -v[74:75]
	v_add_f64_e64 v[0:1], v[125:126], -v[42:43]
	v_add_f64_e64 v[2:3], v[127:128], -v[4:5]
	v_fma_f64 v[46:47], v[161:162], v[76:77], v[46:47]
	v_fma_f64 v[78:79], v[163:164], v[76:77], -v[78:79]
	v_fma_f64 v[90:91], v[121:122], v[80:81], v[117:118]
	v_fma_f64 v[80:81], v[123:124], v[80:81], -v[82:83]
	v_add_f64_e64 v[68:69], v[86:87], -v[8:9]
	v_add_f64_e64 v[8:9], v[133:134], -v[96:97]
	;; [unrolled: 1-line block ×4, first 2 shown]
	v_lshlrev_b64_e32 v[123:124], 4, v[40:41]
	v_lshlrev_b64_e32 v[117:118], 4, v[20:21]
	s_wait_alu 0xf1ff
	v_cndmask_b32_e64 v21, 0, 0xa00, s0
	v_lshlrev_b64_e32 v[121:122], 4, v[28:29]
	s_delay_alu instid0(VALU_DEP_2)
	v_add_nc_u32_e32 v21, 0, v21
	v_add_f64_e64 v[14:15], v[165:166], -v[6:7]
	v_add_f64_e64 v[4:5], v[167:168], -v[48:49]
	;; [unrolled: 1-line block ×6, first 2 shown]
	v_fma_f64 v[82:83], v[84:85], 2.0, -v[62:63]
	v_fma_f64 v[48:49], v[135:136], 2.0, -v[10:11]
	v_add_f64_e64 v[66:67], v[58:59], -v[18:19]
	v_add_f64_e64 v[74:75], v[60:61], -v[56:57]
	v_fma_f64 v[42:43], v[125:126], 2.0, -v[0:1]
	v_fma_f64 v[44:45], v[127:128], 2.0, -v[2:3]
	v_add_f64_e64 v[16:17], v[173:174], -v[46:47]
	v_add_f64_e64 v[18:19], v[175:176], -v[78:79]
	;; [unrolled: 1-line block ×4, first 2 shown]
	v_fma_f64 v[84:85], v[86:87], 2.0, -v[68:69]
	v_fma_f64 v[46:47], v[133:134], 2.0, -v[8:9]
	;; [unrolled: 1-line block ×4, first 2 shown]
	v_lshlrev_b64_e32 v[127:128], 4, v[36:37]
	v_lshlrev_b64_e32 v[125:126], 4, v[38:39]
	v_add_f64_e64 v[39:40], v[10:11], -v[70:71]
	v_add_f64_e32 v[37:38], v[8:9], v[72:73]
	v_lshlrev_b64_e32 v[133:134], 4, v[30:31]
	v_add_co_u32 v31, s0, s4, v117
	v_fma_f64 v[50:51], v[165:166], 2.0, -v[14:15]
	v_fma_f64 v[52:53], v[167:168], 2.0, -v[4:5]
	;; [unrolled: 1-line block ×4, first 2 shown]
	v_lshlrev_b64_e32 v[129:130], 4, v[34:35]
	v_add_f64_e64 v[35:36], v[2:3], -v[62:63]
	v_add_f64_e32 v[62:63], v[14:15], v[76:77]
	v_add_f64_e64 v[64:65], v[4:5], -v[64:65]
	v_lshlrev_b64_e32 v[119:120], 4, v[24:25]
	v_fma_f64 v[54:55], v[169:170], 2.0, -v[12:13]
	v_fma_f64 v[56:57], v[171:172], 2.0, -v[6:7]
	;; [unrolled: 1-line block ×4, first 2 shown]
	v_add_f64_e32 v[72:73], v[12:13], v[74:75]
	v_add_f64_e64 v[74:75], v[6:7], -v[66:67]
	v_lshlrev_b64_e32 v[66:67], 4, v[26:27]
	v_fma_f64 v[58:59], v[173:174], 2.0, -v[16:17]
	v_fma_f64 v[60:61], v[175:176], 2.0, -v[18:19]
	;; [unrolled: 1-line block ×4, first 2 shown]
	v_lshlrev_b64_e32 v[131:132], 4, v[32:33]
	v_add_f64_e32 v[33:34], v[0:1], v[68:69]
	v_add_f64_e64 v[68:69], v[42:43], -v[82:83]
	v_add_f64_e64 v[70:71], v[44:45], -v[84:85]
	;; [unrolled: 1-line block ×4, first 2 shown]
	v_add_f64_e32 v[76:77], v[16:17], v[80:81]
	v_add_f64_e64 v[78:79], v[18:19], -v[78:79]
	v_fma_f64 v[8:9], v[8:9], 2.0, -v[37:38]
	v_fma_f64 v[10:11], v[10:11], 2.0, -v[39:40]
	s_wait_alu 0xf1ff
	v_add_co_ci_u32_e64 v32, s0, s5, v118, s0
	v_add_co_u32 v29, s0, s4, v119
	s_wait_alu 0xf1ff
	v_add_co_ci_u32_e64 v30, s0, s5, v120, s0
	v_add_co_u32 v27, s0, s4, v121
	v_add_f64_e64 v[86:87], v[50:51], -v[90:91]
	v_add_f64_e64 v[88:89], v[52:53], -v[92:93]
	v_fma_f64 v[2:3], v[2:3], 2.0, -v[35:36]
	s_wait_alu 0xf1ff
	v_add_co_ci_u32_e64 v28, s0, s5, v122, s0
	v_add_co_u32 v25, s0, s4, v123
	s_wait_alu 0xf1ff
	v_add_co_ci_u32_e64 v26, s0, s5, v124, s0
	v_add_f64_e64 v[90:91], v[54:55], -v[94:95]
	v_add_f64_e64 v[92:93], v[56:57], -v[96:97]
	v_fma_f64 v[6:7], v[6:7], 2.0, -v[74:75]
	v_add_f64_e64 v[94:95], v[58:59], -v[98:99]
	v_add_f64_e64 v[96:97], v[60:61], -v[100:101]
	v_fma_f64 v[98:99], v[14:15], 2.0, -v[62:63]
	v_fma_f64 v[0:1], v[0:1], 2.0, -v[33:34]
	;; [unrolled: 1-line block ×10, first 2 shown]
	v_add_co_u32 v18, s0, s4, v125
	s_wait_alu 0xf1ff
	v_add_co_ci_u32_e64 v19, s0, s5, v126, s0
	v_add_co_u32 v16, s0, s4, v127
	s_wait_alu 0xf1ff
	v_add_co_ci_u32_e64 v17, s0, s5, v128, s0
	v_fma_f64 v[49:50], v[50:51], 2.0, -v[86:87]
	v_fma_f64 v[51:52], v[52:53], 2.0, -v[88:89]
	v_add_co_u32 v14, s0, s4, v129
	s_wait_alu 0xf1ff
	v_add_co_ci_u32_e64 v15, s0, s5, v130, s0
	v_add_co_u32 v12, s0, s4, v131
	s_wait_alu 0xf1ff
	v_add_co_ci_u32_e64 v13, s0, s5, v132, s0
	v_fma_f64 v[53:54], v[54:55], 2.0, -v[90:91]
	v_fma_f64 v[55:56], v[56:57], 2.0, -v[92:93]
	;; [unrolled: 1-line block ×4, first 2 shown]
	v_lshlrev_b32_e32 v61, 4, v116
	s_delay_alu instid0(VALU_DEP_1)
	v_add3_u32 v21, v21, v61, v105
	ds_store_b128 v104, v[33:36] offset:1920
	ds_store_b128 v104, v[68:71] offset:1280
	;; [unrolled: 1-line block ×3, first 2 shown]
	ds_store_b128 v104, v[41:44]
	ds_store_b128 v115, v[45:48]
	ds_store_b128 v115, v[8:11] offset:640
	ds_store_b128 v115, v[82:85] offset:1280
	;; [unrolled: 1-line block ×3, first 2 shown]
	ds_store_b128 v21, v[49:52]
	ds_store_b128 v21, v[98:101] offset:640
	ds_store_b128 v21, v[86:89] offset:1280
	;; [unrolled: 1-line block ×11, first 2 shown]
	global_wb scope:SCOPE_SE
	s_wait_dscnt 0x0
	s_barrier_signal -1
	s_barrier_wait -1
	global_inv scope:SCOPE_SE
	s_clause 0x2
	global_load_b128 v[0:3], v[31:32], off offset:2400
	global_load_b128 v[4:7], v[29:30], off offset:2400
	;; [unrolled: 1-line block ×3, first 2 shown]
	v_add_co_u32 v10, s0, s4, v133
	s_clause 0x3
	global_load_b128 v[37:40], v[25:26], off offset:2400
	global_load_b128 v[41:44], v[18:19], off offset:2400
	;; [unrolled: 1-line block ×4, first 2 shown]
	s_wait_alu 0xf1ff
	v_add_co_ci_u32_e64 v11, s0, s5, v134, s0
	v_add_co_u32 v8, s0, s4, v66
	s_wait_alu 0xf1ff
	v_add_co_ci_u32_e64 v9, s0, s5, v67, s0
	s_clause 0x2
	global_load_b128 v[53:56], v[12:13], off offset:2400
	global_load_b128 v[57:60], v[10:11], off offset:2400
	global_load_b128 v[61:64], v[8:9], off offset:2400
	ds_load_b128 v[65:68], v104 offset:2560
	ds_load_b128 v[69:72], v104 offset:2816
	;; [unrolled: 1-line block ×10, first 2 shown]
	ds_load_b128 v[120:123], v103
	v_sub_nc_u32_e32 v21, v106, v102
	v_cmp_ne_u32_e64 s0, 0, v20
	s_wait_loadcnt_dscnt 0x90a
	v_mul_f64_e32 v[124:125], v[67:68], v[2:3]
	v_mul_f64_e32 v[2:3], v[65:66], v[2:3]
	s_wait_loadcnt_dscnt 0x809
	v_mul_f64_e32 v[126:127], v[71:72], v[6:7]
	v_mul_f64_e32 v[6:7], v[69:70], v[6:7]
	;; [unrolled: 3-line block ×10, first 2 shown]
	v_fma_f64 v[65:66], v[65:66], v[0:1], v[124:125]
	v_fma_f64 v[67:68], v[67:68], v[0:1], -v[2:3]
	v_fma_f64 v[69:70], v[69:70], v[4:5], v[126:127]
	v_fma_f64 v[71:72], v[71:72], v[4:5], -v[6:7]
	;; [unrolled: 2-line block ×10, first 2 shown]
	ds_load_b128 v[0:3], v115
	ds_load_b128 v[4:7], v114
	;; [unrolled: 1-line block ×9, first 2 shown]
	global_wb scope:SCOPE_SE
	s_wait_dscnt 0x0
	s_barrier_signal -1
	s_barrier_wait -1
	global_inv scope:SCOPE_SE
	v_add_f64_e64 v[61:62], v[120:121], -v[65:66]
	v_add_f64_e64 v[63:64], v[122:123], -v[67:68]
	v_add_f64_e64 v[65:66], v[0:1], -v[69:70]
	v_add_f64_e64 v[67:68], v[2:3], -v[71:72]
	v_add_f64_e64 v[69:70], v[4:5], -v[73:74]
	v_add_f64_e64 v[71:72], v[6:7], -v[75:76]
	v_add_f64_e64 v[73:74], v[33:34], -v[77:78]
	v_add_f64_e64 v[75:76], v[35:36], -v[79:80]
	v_add_f64_e64 v[77:78], v[37:38], -v[81:82]
	v_add_f64_e64 v[79:80], v[39:40], -v[83:84]
	v_add_f64_e64 v[81:82], v[41:42], -v[85:86]
	v_add_f64_e64 v[83:84], v[43:44], -v[87:88]
	v_add_f64_e64 v[85:86], v[45:46], -v[89:90]
	v_add_f64_e64 v[87:88], v[47:48], -v[91:92]
	v_add_f64_e64 v[89:90], v[49:50], -v[93:94]
	v_add_f64_e64 v[91:92], v[51:52], -v[95:96]
	v_add_f64_e64 v[93:94], v[53:54], -v[97:98]
	v_add_f64_e64 v[95:96], v[55:56], -v[99:100]
	v_add_f64_e64 v[97:98], v[57:58], -v[116:117]
	v_add_f64_e64 v[99:100], v[59:60], -v[118:119]
	v_fma_f64 v[116:117], v[120:121], 2.0, -v[61:62]
	v_fma_f64 v[118:119], v[122:123], 2.0, -v[63:64]
	;; [unrolled: 1-line block ×20, first 2 shown]
	ds_store_b128 v104, v[61:64] offset:2560
	ds_store_b128 v104, v[116:119]
	ds_store_b128 v115, v[0:3]
	ds_store_b128 v115, v[65:68] offset:2560
	ds_store_b128 v114, v[4:7]
	ds_store_b128 v114, v[69:72] offset:2560
	;; [unrolled: 2-line block ×9, first 2 shown]
	global_wb scope:SCOPE_SE
	s_wait_dscnt 0x0
	s_barrier_signal -1
	s_barrier_wait -1
	global_inv scope:SCOPE_SE
	ds_load_b128 v[4:7], v103
                                        ; implicit-def: $vgpr0_vgpr1
                                        ; implicit-def: $vgpr33_vgpr34
                                        ; implicit-def: $vgpr35_vgpr36
	s_and_saveexec_b32 s1, s0
	s_wait_alu 0xfffe
	s_xor_b32 s0, exec_lo, s1
	s_cbranch_execz .LBB0_15
; %bb.14:
	global_load_b128 v[31:34], v[31:32], off offset:4960
	ds_load_b128 v[0:3], v21 offset:5120
	s_wait_dscnt 0x0
	v_add_f64_e64 v[35:36], v[4:5], -v[0:1]
	v_add_f64_e32 v[37:38], v[6:7], v[2:3]
	v_add_f64_e64 v[2:3], v[6:7], -v[2:3]
	v_add_f64_e32 v[0:1], v[4:5], v[0:1]
	s_delay_alu instid0(VALU_DEP_4) | instskip(NEXT) | instid1(VALU_DEP_4)
	v_mul_f64_e32 v[6:7], 0.5, v[35:36]
	v_mul_f64_e32 v[4:5], 0.5, v[37:38]
	s_delay_alu instid0(VALU_DEP_4) | instskip(SKIP_1) | instid1(VALU_DEP_3)
	v_mul_f64_e32 v[2:3], 0.5, v[2:3]
	s_wait_loadcnt 0x0
	v_mul_f64_e32 v[35:36], v[6:7], v[33:34]
	s_delay_alu instid0(VALU_DEP_2) | instskip(SKIP_1) | instid1(VALU_DEP_3)
	v_fma_f64 v[37:38], v[4:5], v[33:34], v[2:3]
	v_fma_f64 v[2:3], v[4:5], v[33:34], -v[2:3]
	v_fma_f64 v[39:40], v[0:1], 0.5, v[35:36]
	v_fma_f64 v[0:1], v[0:1], 0.5, -v[35:36]
	s_delay_alu instid0(VALU_DEP_4) | instskip(NEXT) | instid1(VALU_DEP_4)
	v_fma_f64 v[35:36], -v[31:32], v[6:7], v[37:38]
	v_fma_f64 v[2:3], -v[31:32], v[6:7], v[2:3]
	s_delay_alu instid0(VALU_DEP_4) | instskip(NEXT) | instid1(VALU_DEP_4)
	v_fma_f64 v[33:34], v[4:5], v[31:32], v[39:40]
	v_fma_f64 v[0:1], -v[4:5], v[31:32], v[0:1]
                                        ; implicit-def: $vgpr4_vgpr5
.LBB0_15:
	s_wait_alu 0xfffe
	s_and_not1_saveexec_b32 s0, s0
	s_cbranch_execz .LBB0_17
; %bb.16:
	s_wait_dscnt 0x0
	v_add_f64_e32 v[33:34], v[4:5], v[6:7]
	v_add_f64_e64 v[0:1], v[4:5], -v[6:7]
	ds_load_b64 v[4:5], v106 offset:2568
	v_mov_b32_e32 v35, 0
	v_mov_b32_e32 v36, 0
	s_delay_alu instid0(VALU_DEP_1)
	v_dual_mov_b32 v2, v35 :: v_dual_mov_b32 v3, v36
	s_wait_dscnt 0x0
	v_xor_b32_e32 v5, 0x80000000, v5
	ds_store_b64 v106, v[4:5] offset:2568
.LBB0_17:
	s_wait_alu 0xfffe
	s_or_b32 exec_lo, exec_lo, s0
	s_wait_dscnt 0x0
	s_clause 0x1
	global_load_b128 v[4:7], v[29:30], off offset:4960
	global_load_b128 v[27:30], v[27:28], off offset:4960
	v_lshl_add_u32 v24, v24, 4, v106
	ds_store_2addr_b64 v103, v[33:34], v[35:36] offset1:1
	ds_store_b128 v21, v[0:3] offset:5120
	ds_load_b128 v[0:3], v24
	ds_load_b128 v[31:34], v21 offset:4864
	s_wait_dscnt 0x0
	v_add_f64_e64 v[35:36], v[0:1], -v[31:32]
	v_add_f64_e32 v[37:38], v[2:3], v[33:34]
	v_add_f64_e64 v[2:3], v[2:3], -v[33:34]
	v_add_f64_e32 v[0:1], v[0:1], v[31:32]
	s_delay_alu instid0(VALU_DEP_4) | instskip(NEXT) | instid1(VALU_DEP_4)
	v_mul_f64_e32 v[33:34], 0.5, v[35:36]
	v_mul_f64_e32 v[35:36], 0.5, v[37:38]
	s_delay_alu instid0(VALU_DEP_4) | instskip(SKIP_1) | instid1(VALU_DEP_3)
	v_mul_f64_e32 v[2:3], 0.5, v[2:3]
	s_wait_loadcnt 0x1
	v_mul_f64_e32 v[31:32], v[33:34], v[6:7]
	s_delay_alu instid0(VALU_DEP_2) | instskip(SKIP_1) | instid1(VALU_DEP_3)
	v_fma_f64 v[37:38], v[35:36], v[6:7], v[2:3]
	v_fma_f64 v[2:3], v[35:36], v[6:7], -v[2:3]
	v_fma_f64 v[6:7], v[0:1], 0.5, v[31:32]
	v_fma_f64 v[0:1], v[0:1], 0.5, -v[31:32]
	s_delay_alu instid0(VALU_DEP_4) | instskip(NEXT) | instid1(VALU_DEP_4)
	v_fma_f64 v[31:32], -v[4:5], v[33:34], v[37:38]
	v_fma_f64 v[2:3], -v[4:5], v[33:34], v[2:3]
	s_delay_alu instid0(VALU_DEP_4) | instskip(NEXT) | instid1(VALU_DEP_4)
	v_fma_f64 v[33:34], v[35:36], v[4:5], v[6:7]
	v_fma_f64 v[0:1], -v[35:36], v[4:5], v[0:1]
	global_load_b128 v[4:7], v[25:26], off offset:4960
	ds_store_2addr_b64 v24, v[33:34], v[31:32] offset1:1
	ds_store_b128 v21, v[0:3] offset:4864
	ds_load_b128 v[0:3], v114
	ds_load_b128 v[31:34], v21 offset:4608
	s_wait_dscnt 0x0
	v_add_f64_e64 v[24:25], v[0:1], -v[31:32]
	v_add_f64_e32 v[35:36], v[2:3], v[33:34]
	v_add_f64_e64 v[2:3], v[2:3], -v[33:34]
	v_add_f64_e32 v[0:1], v[0:1], v[31:32]
	s_delay_alu instid0(VALU_DEP_4) | instskip(NEXT) | instid1(VALU_DEP_4)
	v_mul_f64_e32 v[24:25], 0.5, v[24:25]
	v_mul_f64_e32 v[33:34], 0.5, v[35:36]
	s_delay_alu instid0(VALU_DEP_4) | instskip(SKIP_1) | instid1(VALU_DEP_3)
	v_mul_f64_e32 v[2:3], 0.5, v[2:3]
	s_wait_loadcnt 0x1
	v_mul_f64_e32 v[31:32], v[24:25], v[29:30]
	s_delay_alu instid0(VALU_DEP_2) | instskip(SKIP_1) | instid1(VALU_DEP_3)
	v_fma_f64 v[35:36], v[33:34], v[29:30], v[2:3]
	v_fma_f64 v[2:3], v[33:34], v[29:30], -v[2:3]
	v_fma_f64 v[29:30], v[0:1], 0.5, v[31:32]
	v_fma_f64 v[0:1], v[0:1], 0.5, -v[31:32]
	s_delay_alu instid0(VALU_DEP_4) | instskip(NEXT) | instid1(VALU_DEP_4)
	v_fma_f64 v[31:32], -v[27:28], v[24:25], v[35:36]
	v_fma_f64 v[2:3], -v[27:28], v[24:25], v[2:3]
	s_delay_alu instid0(VALU_DEP_4) | instskip(NEXT) | instid1(VALU_DEP_4)
	v_fma_f64 v[29:30], v[33:34], v[27:28], v[29:30]
	v_fma_f64 v[0:1], -v[33:34], v[27:28], v[0:1]
	global_load_b128 v[24:27], v[18:19], off offset:4960
	;; [unrolled: 28-line block ×3, first 2 shown]
	ds_store_2addr_b64 v113, v[18:19], v[28:29] offset1:1
	ds_store_b128 v21, v[0:3] offset:4352
	ds_load_b128 v[0:3], v112
	ds_load_b128 v[16:19], v21 offset:4096
	s_wait_dscnt 0x0
	v_add_f64_e64 v[28:29], v[0:1], -v[16:17]
	v_add_f64_e32 v[30:31], v[2:3], v[18:19]
	v_add_f64_e64 v[2:3], v[2:3], -v[18:19]
	v_add_f64_e32 v[0:1], v[0:1], v[16:17]
	s_delay_alu instid0(VALU_DEP_4) | instskip(NEXT) | instid1(VALU_DEP_4)
	v_mul_f64_e32 v[18:19], 0.5, v[28:29]
	v_mul_f64_e32 v[28:29], 0.5, v[30:31]
	s_delay_alu instid0(VALU_DEP_4) | instskip(SKIP_1) | instid1(VALU_DEP_3)
	v_mul_f64_e32 v[2:3], 0.5, v[2:3]
	s_wait_loadcnt 0x1
	v_mul_f64_e32 v[16:17], v[18:19], v[26:27]
	s_delay_alu instid0(VALU_DEP_2) | instskip(SKIP_1) | instid1(VALU_DEP_3)
	v_fma_f64 v[30:31], v[28:29], v[26:27], v[2:3]
	v_fma_f64 v[2:3], v[28:29], v[26:27], -v[2:3]
	v_fma_f64 v[26:27], v[0:1], 0.5, v[16:17]
	v_fma_f64 v[0:1], v[0:1], 0.5, -v[16:17]
	s_delay_alu instid0(VALU_DEP_4) | instskip(NEXT) | instid1(VALU_DEP_4)
	v_fma_f64 v[30:31], -v[24:25], v[18:19], v[30:31]
	v_fma_f64 v[2:3], -v[24:25], v[18:19], v[2:3]
	global_load_b128 v[14:17], v[14:15], off offset:4960
	v_fma_f64 v[18:19], v[28:29], v[24:25], v[26:27]
	v_fma_f64 v[0:1], -v[28:29], v[24:25], v[0:1]
	ds_store_2addr_b64 v112, v[18:19], v[30:31] offset1:1
	ds_store_b128 v21, v[0:3] offset:4096
	ds_load_b128 v[0:3], v109
	ds_load_b128 v[24:27], v21 offset:3840
	s_wait_dscnt 0x0
	v_add_f64_e64 v[18:19], v[0:1], -v[24:25]
	v_add_f64_e32 v[28:29], v[2:3], v[26:27]
	v_add_f64_e64 v[2:3], v[2:3], -v[26:27]
	v_add_f64_e32 v[0:1], v[0:1], v[24:25]
	s_delay_alu instid0(VALU_DEP_4) | instskip(NEXT) | instid1(VALU_DEP_4)
	v_mul_f64_e32 v[18:19], 0.5, v[18:19]
	v_mul_f64_e32 v[26:27], 0.5, v[28:29]
	s_delay_alu instid0(VALU_DEP_4) | instskip(SKIP_1) | instid1(VALU_DEP_3)
	v_mul_f64_e32 v[2:3], 0.5, v[2:3]
	s_wait_loadcnt 0x1
	v_mul_f64_e32 v[24:25], v[18:19], v[6:7]
	s_delay_alu instid0(VALU_DEP_2) | instskip(SKIP_1) | instid1(VALU_DEP_3)
	v_fma_f64 v[28:29], v[26:27], v[6:7], v[2:3]
	v_fma_f64 v[2:3], v[26:27], v[6:7], -v[2:3]
	v_fma_f64 v[6:7], v[0:1], 0.5, v[24:25]
	v_fma_f64 v[0:1], v[0:1], 0.5, -v[24:25]
	s_delay_alu instid0(VALU_DEP_4) | instskip(NEXT) | instid1(VALU_DEP_4)
	v_fma_f64 v[24:25], -v[4:5], v[18:19], v[28:29]
	v_fma_f64 v[2:3], -v[4:5], v[18:19], v[2:3]
	s_delay_alu instid0(VALU_DEP_4) | instskip(NEXT) | instid1(VALU_DEP_4)
	v_fma_f64 v[18:19], v[26:27], v[4:5], v[6:7]
	v_fma_f64 v[0:1], -v[26:27], v[4:5], v[0:1]
	global_load_b128 v[4:7], v[12:13], off offset:4960
	ds_store_2addr_b64 v109, v[18:19], v[24:25] offset1:1
	ds_store_b128 v21, v[0:3] offset:3840
	ds_load_b128 v[0:3], v108
	ds_load_b128 v[24:27], v21 offset:3584
	s_wait_dscnt 0x0
	v_add_f64_e64 v[12:13], v[0:1], -v[24:25]
	v_add_f64_e32 v[18:19], v[2:3], v[26:27]
	v_add_f64_e64 v[2:3], v[2:3], -v[26:27]
	v_add_f64_e32 v[0:1], v[0:1], v[24:25]
	s_delay_alu instid0(VALU_DEP_4) | instskip(NEXT) | instid1(VALU_DEP_4)
	v_mul_f64_e32 v[12:13], 0.5, v[12:13]
	v_mul_f64_e32 v[18:19], 0.5, v[18:19]
	s_delay_alu instid0(VALU_DEP_4) | instskip(SKIP_1) | instid1(VALU_DEP_3)
	v_mul_f64_e32 v[2:3], 0.5, v[2:3]
	s_wait_loadcnt 0x1
	v_mul_f64_e32 v[24:25], v[12:13], v[16:17]
	s_delay_alu instid0(VALU_DEP_2) | instskip(SKIP_1) | instid1(VALU_DEP_3)
	v_fma_f64 v[26:27], v[18:19], v[16:17], v[2:3]
	v_fma_f64 v[2:3], v[18:19], v[16:17], -v[2:3]
	v_fma_f64 v[16:17], v[0:1], 0.5, v[24:25]
	v_fma_f64 v[0:1], v[0:1], 0.5, -v[24:25]
	s_delay_alu instid0(VALU_DEP_4) | instskip(NEXT) | instid1(VALU_DEP_4)
	v_fma_f64 v[24:25], -v[14:15], v[12:13], v[26:27]
	v_fma_f64 v[2:3], -v[14:15], v[12:13], v[2:3]
	global_load_b128 v[10:13], v[10:11], off offset:4960
	v_fma_f64 v[16:17], v[18:19], v[14:15], v[16:17]
	v_fma_f64 v[0:1], -v[18:19], v[14:15], v[0:1]
	ds_store_2addr_b64 v108, v[16:17], v[24:25] offset1:1
	ds_store_b128 v21, v[0:3] offset:3584
	ds_load_b128 v[0:3], v107
	ds_load_b128 v[14:17], v21 offset:3328
	s_wait_dscnt 0x0
	v_add_f64_e64 v[18:19], v[0:1], -v[14:15]
	v_add_f64_e32 v[24:25], v[2:3], v[16:17]
	v_add_f64_e64 v[2:3], v[2:3], -v[16:17]
	v_add_f64_e32 v[0:1], v[0:1], v[14:15]
	s_delay_alu instid0(VALU_DEP_4) | instskip(NEXT) | instid1(VALU_DEP_4)
	v_mul_f64_e32 v[16:17], 0.5, v[18:19]
	v_mul_f64_e32 v[18:19], 0.5, v[24:25]
	s_delay_alu instid0(VALU_DEP_4) | instskip(SKIP_1) | instid1(VALU_DEP_3)
	v_mul_f64_e32 v[2:3], 0.5, v[2:3]
	s_wait_loadcnt 0x1
	v_mul_f64_e32 v[14:15], v[16:17], v[6:7]
	s_delay_alu instid0(VALU_DEP_2) | instskip(SKIP_1) | instid1(VALU_DEP_3)
	v_fma_f64 v[24:25], v[18:19], v[6:7], v[2:3]
	v_fma_f64 v[2:3], v[18:19], v[6:7], -v[2:3]
	v_fma_f64 v[6:7], v[0:1], 0.5, v[14:15]
	v_fma_f64 v[0:1], v[0:1], 0.5, -v[14:15]
	s_delay_alu instid0(VALU_DEP_4) | instskip(NEXT) | instid1(VALU_DEP_4)
	v_fma_f64 v[14:15], -v[4:5], v[16:17], v[24:25]
	v_fma_f64 v[2:3], -v[4:5], v[16:17], v[2:3]
	s_delay_alu instid0(VALU_DEP_4) | instskip(NEXT) | instid1(VALU_DEP_4)
	v_fma_f64 v[16:17], v[18:19], v[4:5], v[6:7]
	v_fma_f64 v[0:1], -v[18:19], v[4:5], v[0:1]
	global_load_b128 v[4:7], v[8:9], off offset:4960
	ds_store_2addr_b64 v107, v[16:17], v[14:15] offset1:1
	ds_store_b128 v21, v[0:3] offset:3328
	ds_load_b128 v[0:3], v111
	ds_load_b128 v[14:17], v21 offset:3072
	s_wait_dscnt 0x0
	v_add_f64_e64 v[8:9], v[0:1], -v[14:15]
	v_add_f64_e32 v[18:19], v[2:3], v[16:17]
	v_add_f64_e64 v[2:3], v[2:3], -v[16:17]
	v_add_f64_e32 v[0:1], v[0:1], v[14:15]
	s_delay_alu instid0(VALU_DEP_4) | instskip(NEXT) | instid1(VALU_DEP_4)
	v_mul_f64_e32 v[8:9], 0.5, v[8:9]
	v_mul_f64_e32 v[16:17], 0.5, v[18:19]
	s_delay_alu instid0(VALU_DEP_4) | instskip(SKIP_1) | instid1(VALU_DEP_3)
	v_mul_f64_e32 v[2:3], 0.5, v[2:3]
	s_wait_loadcnt 0x1
	v_mul_f64_e32 v[14:15], v[8:9], v[12:13]
	s_delay_alu instid0(VALU_DEP_2) | instskip(SKIP_1) | instid1(VALU_DEP_3)
	v_fma_f64 v[18:19], v[16:17], v[12:13], v[2:3]
	v_fma_f64 v[2:3], v[16:17], v[12:13], -v[2:3]
	v_fma_f64 v[12:13], v[0:1], 0.5, v[14:15]
	v_fma_f64 v[0:1], v[0:1], 0.5, -v[14:15]
	s_delay_alu instid0(VALU_DEP_4) | instskip(NEXT) | instid1(VALU_DEP_4)
	v_fma_f64 v[14:15], -v[10:11], v[8:9], v[18:19]
	v_fma_f64 v[2:3], -v[10:11], v[8:9], v[2:3]
	s_delay_alu instid0(VALU_DEP_4) | instskip(NEXT) | instid1(VALU_DEP_4)
	v_fma_f64 v[8:9], v[16:17], v[10:11], v[12:13]
	v_fma_f64 v[0:1], -v[16:17], v[10:11], v[0:1]
	ds_store_2addr_b64 v111, v[8:9], v[14:15] offset1:1
	ds_store_b128 v21, v[0:3] offset:3072
	ds_load_b128 v[0:3], v110
	ds_load_b128 v[8:11], v21 offset:2816
	s_wait_dscnt 0x0
	v_add_f64_e64 v[12:13], v[0:1], -v[8:9]
	v_add_f64_e32 v[14:15], v[2:3], v[10:11]
	v_add_f64_e64 v[2:3], v[2:3], -v[10:11]
	v_add_f64_e32 v[0:1], v[0:1], v[8:9]
	s_delay_alu instid0(VALU_DEP_4) | instskip(NEXT) | instid1(VALU_DEP_4)
	v_mul_f64_e32 v[10:11], 0.5, v[12:13]
	v_mul_f64_e32 v[12:13], 0.5, v[14:15]
	s_delay_alu instid0(VALU_DEP_4) | instskip(SKIP_1) | instid1(VALU_DEP_3)
	v_mul_f64_e32 v[2:3], 0.5, v[2:3]
	s_wait_loadcnt 0x0
	v_mul_f64_e32 v[8:9], v[10:11], v[6:7]
	s_delay_alu instid0(VALU_DEP_2) | instskip(SKIP_1) | instid1(VALU_DEP_3)
	v_fma_f64 v[14:15], v[12:13], v[6:7], v[2:3]
	v_fma_f64 v[2:3], v[12:13], v[6:7], -v[2:3]
	v_fma_f64 v[6:7], v[0:1], 0.5, v[8:9]
	v_fma_f64 v[0:1], v[0:1], 0.5, -v[8:9]
	s_delay_alu instid0(VALU_DEP_4) | instskip(NEXT) | instid1(VALU_DEP_4)
	v_fma_f64 v[8:9], -v[4:5], v[10:11], v[14:15]
	v_fma_f64 v[2:3], -v[4:5], v[10:11], v[2:3]
	s_delay_alu instid0(VALU_DEP_4) | instskip(NEXT) | instid1(VALU_DEP_4)
	v_fma_f64 v[6:7], v[12:13], v[4:5], v[6:7]
	v_fma_f64 v[0:1], -v[12:13], v[4:5], v[0:1]
	ds_store_2addr_b64 v110, v[6:7], v[8:9] offset1:1
	ds_store_b128 v21, v[0:3] offset:2816
	global_wb scope:SCOPE_SE
	s_wait_dscnt 0x0
	s_barrier_signal -1
	s_barrier_wait -1
	global_inv scope:SCOPE_SE
	s_and_saveexec_b32 s0, vcc_lo
	s_cbranch_execz .LBB0_20
; %bb.18:
	v_add_co_u32 v0, vcc_lo, s8, v22
	s_wait_alu 0xfffd
	v_add_co_ci_u32_e32 v1, vcc_lo, s9, v23, vcc_lo
	ds_load_b128 v[2:5], v103
	ds_load_b128 v[6:9], v103 offset:256
	ds_load_b128 v[10:13], v103 offset:512
	;; [unrolled: 1-line block ×19, first 2 shown]
	v_add_co_u32 v18, vcc_lo, v0, v102
	s_wait_alu 0xfffd
	v_add_co_ci_u32_e32 v19, vcc_lo, 0, v1, vcc_lo
	v_cmp_eq_u32_e32 vcc_lo, 15, v20
	s_wait_dscnt 0x13
	global_store_b128 v[18:19], v[2:5], off
	s_wait_dscnt 0x12
	global_store_b128 v[18:19], v[6:9], off offset:256
	s_wait_dscnt 0x11
	global_store_b128 v[18:19], v[10:13], off offset:512
	s_wait_dscnt 0x10
	global_store_b128 v[18:19], v[14:17], off offset:768
	s_wait_dscnt 0xf
	global_store_b128 v[18:19], v[21:24], off offset:1024
	s_wait_dscnt 0xe
	global_store_b128 v[18:19], v[25:28], off offset:1280
	s_wait_dscnt 0xd
	global_store_b128 v[18:19], v[29:32], off offset:1536
	s_wait_dscnt 0xc
	global_store_b128 v[18:19], v[33:36], off offset:1792
	s_wait_dscnt 0xb
	global_store_b128 v[18:19], v[37:40], off offset:2048
	s_wait_dscnt 0xa
	global_store_b128 v[18:19], v[41:44], off offset:2304
	s_wait_dscnt 0x9
	global_store_b128 v[18:19], v[45:48], off offset:2560
	s_wait_dscnt 0x8
	global_store_b128 v[18:19], v[49:52], off offset:2816
	s_wait_dscnt 0x7
	global_store_b128 v[18:19], v[53:56], off offset:3072
	s_wait_dscnt 0x6
	global_store_b128 v[18:19], v[57:60], off offset:3328
	s_wait_dscnt 0x5
	global_store_b128 v[18:19], v[61:64], off offset:3584
	s_wait_dscnt 0x4
	global_store_b128 v[18:19], v[65:68], off offset:3840
	s_wait_dscnt 0x3
	global_store_b128 v[18:19], v[69:72], off offset:4096
	s_wait_dscnt 0x2
	global_store_b128 v[18:19], v[73:76], off offset:4352
	s_wait_dscnt 0x1
	global_store_b128 v[18:19], v[77:80], off offset:4608
	s_wait_dscnt 0x0
	global_store_b128 v[18:19], v[81:84], off offset:4864
	s_and_b32 exec_lo, exec_lo, vcc_lo
	s_cbranch_execz .LBB0_20
; %bb.19:
	ds_load_b128 v[2:5], v103 offset:4880
	s_wait_dscnt 0x0
	global_store_b128 v[0:1], v[2:5], off offset:5120
.LBB0_20:
	s_nop 0
	s_sendmsg sendmsg(MSG_DEALLOC_VGPRS)
	s_endpgm
	.section	.rodata,"a",@progbits
	.p2align	6, 0x0
	.amdhsa_kernel fft_rtc_back_len320_factors_10_4_4_2_wgs_64_tpt_16_halfLds_dp_ip_CI_unitstride_sbrr_R2C_dirReg
		.amdhsa_group_segment_fixed_size 0
		.amdhsa_private_segment_fixed_size 0
		.amdhsa_kernarg_size 88
		.amdhsa_user_sgpr_count 2
		.amdhsa_user_sgpr_dispatch_ptr 0
		.amdhsa_user_sgpr_queue_ptr 0
		.amdhsa_user_sgpr_kernarg_segment_ptr 1
		.amdhsa_user_sgpr_dispatch_id 0
		.amdhsa_user_sgpr_private_segment_size 0
		.amdhsa_wavefront_size32 1
		.amdhsa_uses_dynamic_stack 0
		.amdhsa_enable_private_segment 0
		.amdhsa_system_sgpr_workgroup_id_x 1
		.amdhsa_system_sgpr_workgroup_id_y 0
		.amdhsa_system_sgpr_workgroup_id_z 0
		.amdhsa_system_sgpr_workgroup_info 0
		.amdhsa_system_vgpr_workitem_id 0
		.amdhsa_next_free_vgpr 189
		.amdhsa_next_free_sgpr 32
		.amdhsa_reserve_vcc 1
		.amdhsa_float_round_mode_32 0
		.amdhsa_float_round_mode_16_64 0
		.amdhsa_float_denorm_mode_32 3
		.amdhsa_float_denorm_mode_16_64 3
		.amdhsa_fp16_overflow 0
		.amdhsa_workgroup_processor_mode 1
		.amdhsa_memory_ordered 1
		.amdhsa_forward_progress 0
		.amdhsa_round_robin_scheduling 0
		.amdhsa_exception_fp_ieee_invalid_op 0
		.amdhsa_exception_fp_denorm_src 0
		.amdhsa_exception_fp_ieee_div_zero 0
		.amdhsa_exception_fp_ieee_overflow 0
		.amdhsa_exception_fp_ieee_underflow 0
		.amdhsa_exception_fp_ieee_inexact 0
		.amdhsa_exception_int_div_zero 0
	.end_amdhsa_kernel
	.text
.Lfunc_end0:
	.size	fft_rtc_back_len320_factors_10_4_4_2_wgs_64_tpt_16_halfLds_dp_ip_CI_unitstride_sbrr_R2C_dirReg, .Lfunc_end0-fft_rtc_back_len320_factors_10_4_4_2_wgs_64_tpt_16_halfLds_dp_ip_CI_unitstride_sbrr_R2C_dirReg
                                        ; -- End function
	.section	.AMDGPU.csdata,"",@progbits
; Kernel info:
; codeLenInByte = 12412
; NumSgprs: 34
; NumVgprs: 189
; ScratchSize: 0
; MemoryBound: 0
; FloatMode: 240
; IeeeMode: 1
; LDSByteSize: 0 bytes/workgroup (compile time only)
; SGPRBlocks: 4
; VGPRBlocks: 23
; NumSGPRsForWavesPerEU: 34
; NumVGPRsForWavesPerEU: 189
; Occupancy: 8
; WaveLimiterHint : 1
; COMPUTE_PGM_RSRC2:SCRATCH_EN: 0
; COMPUTE_PGM_RSRC2:USER_SGPR: 2
; COMPUTE_PGM_RSRC2:TRAP_HANDLER: 0
; COMPUTE_PGM_RSRC2:TGID_X_EN: 1
; COMPUTE_PGM_RSRC2:TGID_Y_EN: 0
; COMPUTE_PGM_RSRC2:TGID_Z_EN: 0
; COMPUTE_PGM_RSRC2:TIDIG_COMP_CNT: 0
	.text
	.p2alignl 7, 3214868480
	.fill 96, 4, 3214868480
	.type	__hip_cuid_723f46efc5c4a000,@object ; @__hip_cuid_723f46efc5c4a000
	.section	.bss,"aw",@nobits
	.globl	__hip_cuid_723f46efc5c4a000
__hip_cuid_723f46efc5c4a000:
	.byte	0                               ; 0x0
	.size	__hip_cuid_723f46efc5c4a000, 1

	.ident	"AMD clang version 19.0.0git (https://github.com/RadeonOpenCompute/llvm-project roc-6.4.0 25133 c7fe45cf4b819c5991fe208aaa96edf142730f1d)"
	.section	".note.GNU-stack","",@progbits
	.addrsig
	.addrsig_sym __hip_cuid_723f46efc5c4a000
	.amdgpu_metadata
---
amdhsa.kernels:
  - .args:
      - .actual_access:  read_only
        .address_space:  global
        .offset:         0
        .size:           8
        .value_kind:     global_buffer
      - .offset:         8
        .size:           8
        .value_kind:     by_value
      - .actual_access:  read_only
        .address_space:  global
        .offset:         16
        .size:           8
        .value_kind:     global_buffer
      - .actual_access:  read_only
        .address_space:  global
        .offset:         24
        .size:           8
        .value_kind:     global_buffer
      - .offset:         32
        .size:           8
        .value_kind:     by_value
      - .actual_access:  read_only
        .address_space:  global
        .offset:         40
        .size:           8
        .value_kind:     global_buffer
      - .actual_access:  read_only
        .address_space:  global
        .offset:         48
        .size:           8
        .value_kind:     global_buffer
      - .offset:         56
        .size:           4
        .value_kind:     by_value
      - .actual_access:  read_only
        .address_space:  global
        .offset:         64
        .size:           8
        .value_kind:     global_buffer
      - .actual_access:  read_only
        .address_space:  global
        .offset:         72
        .size:           8
        .value_kind:     global_buffer
      - .address_space:  global
        .offset:         80
        .size:           8
        .value_kind:     global_buffer
    .group_segment_fixed_size: 0
    .kernarg_segment_align: 8
    .kernarg_segment_size: 88
    .language:       OpenCL C
    .language_version:
      - 2
      - 0
    .max_flat_workgroup_size: 64
    .name:           fft_rtc_back_len320_factors_10_4_4_2_wgs_64_tpt_16_halfLds_dp_ip_CI_unitstride_sbrr_R2C_dirReg
    .private_segment_fixed_size: 0
    .sgpr_count:     34
    .sgpr_spill_count: 0
    .symbol:         fft_rtc_back_len320_factors_10_4_4_2_wgs_64_tpt_16_halfLds_dp_ip_CI_unitstride_sbrr_R2C_dirReg.kd
    .uniform_work_group_size: 1
    .uses_dynamic_stack: false
    .vgpr_count:     189
    .vgpr_spill_count: 0
    .wavefront_size: 32
    .workgroup_processor_mode: 1
amdhsa.target:   amdgcn-amd-amdhsa--gfx1201
amdhsa.version:
  - 1
  - 2
...

	.end_amdgpu_metadata
